;; amdgpu-corpus repo=ggml-org/llama.cpp kind=compiled arch=gfx1100 opt=O3
	.text
	.amdgcn_target "amdgcn-amd-amdhsa--gfx1100"
	.amdhsa_code_object_version 6
	.section	.text._ZL15concat_f32_contILi0EEvPKfS1_Pfllllll,"axG",@progbits,_ZL15concat_f32_contILi0EEvPKfS1_Pfllllll,comdat
	.globl	_ZL15concat_f32_contILi0EEvPKfS1_Pfllllll ; -- Begin function _ZL15concat_f32_contILi0EEvPKfS1_Pfllllll
	.p2align	8
	.type	_ZL15concat_f32_contILi0EEvPKfS1_Pfllllll,@function
_ZL15concat_f32_contILi0EEvPKfS1_Pfllllll: ; @_ZL15concat_f32_contILi0EEvPKfS1_Pfllllll
; %bb.0:
	s_clause 0x2
	s_load_b128 s[16:19], s[0:1], 0x30
	s_load_b64 s[2:3], s[0:1], 0x40
	s_load_b32 s4, s[0:1], 0x54
	v_mov_b32_e32 v2, 0
	s_mov_b32 s22, 0
	s_delay_alu instid0(VALU_DEP_1)
	v_mov_b32_e32 v1, v2
	s_waitcnt lgkmcnt(0)
	s_mul_i32 s5, s18, s17
	s_mul_hi_u32 s6, s18, s16
	s_mul_i32 s7, s19, s16
	s_mul_i32 s8, s18, s16
	s_add_i32 s5, s6, s5
	s_mul_i32 s3, s8, s3
	s_mul_hi_u32 s6, s8, s2
	s_add_i32 s5, s5, s7
	s_add_i32 s3, s6, s3
	s_mul_i32 s5, s5, s2
	s_mul_i32 s2, s8, s2
	s_add_i32 s3, s3, s5
	s_add_u32 s12, s0, 0x48
	s_addc_u32 s13, s1, 0
	s_and_b32 s14, s4, 0xffff
	s_mov_b32 s4, exec_lo
	v_mad_u64_u32 v[4:5], null, s14, s15, v[0:1]
	s_delay_alu instid0(VALU_DEP_1)
	v_cmpx_gt_i64_e64 s[2:3], v[4:5]
	s_cbranch_execz .LBB0_11
; %bb.1:
	s_load_b256 s[4:11], s[0:1], 0x0
	s_load_b32 s0, s[12:13], 0x0
	v_cvt_f32_u32_e32 v0, s16
	s_delay_alu instid0(VALU_DEP_1)
	v_rcp_iflag_f32_e32 v0, v0
	s_waitcnt_depctr 0xfff
	v_mul_f32_e32 v0, 0x4f7ffffe, v0
	s_waitcnt lgkmcnt(0)
	s_sub_u32 s1, s16, s10
	s_mul_hi_u32 s13, s14, s0
	s_mul_i32 s12, s14, s0
	s_subb_u32 s23, s17, s11
	s_lshl_b64 s[18:19], s[10:11], 2
	s_lshl_b64 s[20:21], s[16:17], 2
	;; [unrolled: 1-line block ×3, first 2 shown]
	v_cvt_u32_f32_e32 v3, v0
	s_sub_u32 s24, s18, s20
	s_subb_u32 s25, s19, s21
	s_sub_u32 s26, 0, s16
	s_subb_u32 s27, 0, s17
	s_sub_i32 s0, 0, s16
	s_ashr_i32 s18, s17, 31
	v_mul_lo_u32 v0, s0, v3
	s_delay_alu instid0(VALU_DEP_1) | instskip(SKIP_1) | instid1(VALU_DEP_2)
	v_mul_hi_u32 v6, v3, v0
	v_lshlrev_b64 v[0:1], 2, v[4:5]
	v_add_nc_u32_e32 v10, v3, v6
	s_branch .LBB0_3
.LBB0_2:                                ;   in Loop: Header=BB0_3 Depth=1
	s_or_b32 exec_lo, exec_lo, s0
	global_load_b32 v3, v[8:9], off
	v_add_co_u32 v4, vcc_lo, v4, s12
	v_add_co_ci_u32_e32 v5, vcc_lo, s13, v5, vcc_lo
	v_add_co_u32 v6, vcc_lo, s8, v0
	v_add_co_ci_u32_e32 v7, vcc_lo, s9, v1, vcc_lo
	s_delay_alu instid0(VALU_DEP_3) | instskip(SKIP_1) | instid1(VALU_DEP_1)
	v_cmp_le_i64_e32 vcc_lo, s[2:3], v[4:5]
	v_add_co_u32 v0, s0, v0, s14
	v_add_co_ci_u32_e64 v1, s0, s15, v1, s0
	s_or_b32 s22, vcc_lo, s22
	s_waitcnt vmcnt(0)
	global_store_b32 v[6:7], v3, off
	s_and_not1_b32 exec_lo, exec_lo, s22
	s_cbranch_execz .LBB0_11
.LBB0_3:                                ; =>This Inner Loop Header: Depth=1
	v_or_b32_e32 v3, s17, v5
                                        ; implicit-def: $vgpr6_vgpr7
	s_mov_b32 s0, exec_lo
	s_delay_alu instid0(VALU_DEP_1)
	v_cmpx_ne_u64_e32 0, v[2:3]
	s_xor_b32 s28, exec_lo, s0
	s_cbranch_execz .LBB0_5
; %bb.4:                                ;   in Loop: Header=BB0_3 Depth=1
	s_add_u32 s20, s16, s18
	s_mov_b32 s19, s18
	s_addc_u32 s21, s17, s18
	s_delay_alu instid0(SALU_CYCLE_1) | instskip(NEXT) | instid1(SALU_CYCLE_1)
	s_xor_b64 s[20:21], s[20:21], s[18:19]
	v_cvt_f32_u32_e32 v3, s20
	v_cvt_f32_u32_e32 v6, s21
	s_sub_u32 s0, 0, s20
	s_subb_u32 s19, 0, s21
	s_delay_alu instid0(VALU_DEP_1) | instskip(NEXT) | instid1(VALU_DEP_1)
	v_fmac_f32_e32 v3, 0x4f800000, v6
	v_rcp_f32_e32 v3, v3
	s_waitcnt_depctr 0xfff
	v_mul_f32_e32 v3, 0x5f7ffffc, v3
	s_delay_alu instid0(VALU_DEP_1) | instskip(NEXT) | instid1(VALU_DEP_1)
	v_mul_f32_e32 v6, 0x2f800000, v3
	v_trunc_f32_e32 v6, v6
	s_delay_alu instid0(VALU_DEP_1) | instskip(SKIP_1) | instid1(VALU_DEP_2)
	v_fmac_f32_e32 v3, 0xcf800000, v6
	v_cvt_u32_f32_e32 v6, v6
	v_cvt_u32_f32_e32 v3, v3
	s_delay_alu instid0(VALU_DEP_2) | instskip(NEXT) | instid1(VALU_DEP_2)
	v_mul_lo_u32 v7, s0, v6
	v_mul_hi_u32 v8, s0, v3
	v_mul_lo_u32 v9, s19, v3
	s_delay_alu instid0(VALU_DEP_2) | instskip(SKIP_1) | instid1(VALU_DEP_2)
	v_add_nc_u32_e32 v7, v8, v7
	v_mul_lo_u32 v8, s0, v3
	v_add_nc_u32_e32 v7, v7, v9
	s_delay_alu instid0(VALU_DEP_2) | instskip(NEXT) | instid1(VALU_DEP_2)
	v_mul_hi_u32 v9, v3, v8
	v_mul_lo_u32 v11, v3, v7
	v_mul_hi_u32 v12, v3, v7
	v_mul_hi_u32 v13, v6, v8
	v_mul_lo_u32 v8, v6, v8
	v_mul_hi_u32 v14, v6, v7
	v_mul_lo_u32 v7, v6, v7
	v_add_co_u32 v9, vcc_lo, v9, v11
	v_add_co_ci_u32_e32 v11, vcc_lo, 0, v12, vcc_lo
	s_delay_alu instid0(VALU_DEP_2) | instskip(NEXT) | instid1(VALU_DEP_2)
	v_add_co_u32 v8, vcc_lo, v9, v8
	v_add_co_ci_u32_e32 v8, vcc_lo, v11, v13, vcc_lo
	v_add_co_ci_u32_e32 v9, vcc_lo, 0, v14, vcc_lo
	v_ashrrev_i32_e32 v13, 31, v5
	s_delay_alu instid0(VALU_DEP_3) | instskip(NEXT) | instid1(VALU_DEP_3)
	v_add_co_u32 v7, vcc_lo, v8, v7
	v_add_co_ci_u32_e32 v8, vcc_lo, 0, v9, vcc_lo
	s_delay_alu instid0(VALU_DEP_2) | instskip(NEXT) | instid1(VALU_DEP_2)
	v_add_co_u32 v3, vcc_lo, v3, v7
	v_add_co_ci_u32_e32 v6, vcc_lo, v6, v8, vcc_lo
	s_delay_alu instid0(VALU_DEP_2) | instskip(SKIP_1) | instid1(VALU_DEP_3)
	v_mul_hi_u32 v7, s0, v3
	v_mul_lo_u32 v9, s19, v3
	v_mul_lo_u32 v8, s0, v6
	s_delay_alu instid0(VALU_DEP_1) | instskip(SKIP_1) | instid1(VALU_DEP_2)
	v_add_nc_u32_e32 v7, v7, v8
	v_mul_lo_u32 v8, s0, v3
	v_add_nc_u32_e32 v7, v7, v9
	s_delay_alu instid0(VALU_DEP_2) | instskip(NEXT) | instid1(VALU_DEP_2)
	v_mul_hi_u32 v9, v3, v8
	v_mul_lo_u32 v11, v3, v7
	v_mul_hi_u32 v12, v3, v7
	v_mul_hi_u32 v14, v6, v8
	v_mul_lo_u32 v8, v6, v8
	v_mul_hi_u32 v15, v6, v7
	v_mul_lo_u32 v7, v6, v7
	v_add_co_u32 v9, vcc_lo, v9, v11
	v_add_co_ci_u32_e32 v11, vcc_lo, 0, v12, vcc_lo
	s_delay_alu instid0(VALU_DEP_2) | instskip(NEXT) | instid1(VALU_DEP_2)
	v_add_co_u32 v8, vcc_lo, v9, v8
	v_add_co_ci_u32_e32 v8, vcc_lo, v11, v14, vcc_lo
	v_add_co_ci_u32_e32 v9, vcc_lo, 0, v15, vcc_lo
	v_add_co_u32 v11, vcc_lo, v4, v13
	v_add_co_ci_u32_e32 v12, vcc_lo, v5, v13, vcc_lo
	s_delay_alu instid0(VALU_DEP_4) | instskip(NEXT) | instid1(VALU_DEP_4)
	v_add_co_u32 v7, vcc_lo, v8, v7
	v_add_co_ci_u32_e32 v8, vcc_lo, 0, v9, vcc_lo
	s_delay_alu instid0(VALU_DEP_4) | instskip(NEXT) | instid1(VALU_DEP_3)
	v_xor_b32_e32 v14, v11, v13
	v_add_co_u32 v3, vcc_lo, v3, v7
	s_delay_alu instid0(VALU_DEP_3) | instskip(SKIP_1) | instid1(VALU_DEP_3)
	v_add_co_ci_u32_e32 v15, vcc_lo, v6, v8, vcc_lo
	v_xor_b32_e32 v16, v12, v13
	v_mul_hi_u32 v17, v14, v3
	s_delay_alu instid0(VALU_DEP_3) | instskip(NEXT) | instid1(VALU_DEP_3)
	v_mad_u64_u32 v[6:7], null, v14, v15, 0
	v_mad_u64_u32 v[8:9], null, v16, v3, 0
	;; [unrolled: 1-line block ×3, first 2 shown]
	s_delay_alu instid0(VALU_DEP_3) | instskip(NEXT) | instid1(VALU_DEP_4)
	v_add_co_u32 v3, vcc_lo, v17, v6
	v_add_co_ci_u32_e32 v6, vcc_lo, 0, v7, vcc_lo
	s_delay_alu instid0(VALU_DEP_2) | instskip(NEXT) | instid1(VALU_DEP_2)
	v_add_co_u32 v3, vcc_lo, v3, v8
	v_add_co_ci_u32_e32 v3, vcc_lo, v6, v9, vcc_lo
	v_add_co_ci_u32_e32 v6, vcc_lo, 0, v12, vcc_lo
	s_delay_alu instid0(VALU_DEP_2) | instskip(NEXT) | instid1(VALU_DEP_2)
	v_add_co_u32 v3, vcc_lo, v3, v11
	v_add_co_ci_u32_e32 v8, vcc_lo, 0, v6, vcc_lo
	s_delay_alu instid0(VALU_DEP_2) | instskip(SKIP_1) | instid1(VALU_DEP_3)
	v_mul_lo_u32 v9, s21, v3
	v_mad_u64_u32 v[6:7], null, s20, v3, 0
	v_mul_lo_u32 v11, s20, v8
	s_delay_alu instid0(VALU_DEP_2) | instskip(NEXT) | instid1(VALU_DEP_2)
	v_sub_co_u32 v6, vcc_lo, v14, v6
	v_add3_u32 v7, v7, v11, v9
	s_delay_alu instid0(VALU_DEP_1) | instskip(NEXT) | instid1(VALU_DEP_1)
	v_sub_nc_u32_e32 v9, v16, v7
	v_subrev_co_ci_u32_e64 v9, s0, s21, v9, vcc_lo
	v_add_co_u32 v11, s0, v3, 2
	s_delay_alu instid0(VALU_DEP_1) | instskip(SKIP_3) | instid1(VALU_DEP_3)
	v_add_co_ci_u32_e64 v12, s0, 0, v8, s0
	v_sub_co_u32 v14, s0, v6, s20
	v_sub_co_ci_u32_e32 v7, vcc_lo, v16, v7, vcc_lo
	v_subrev_co_ci_u32_e64 v9, s0, 0, v9, s0
	v_cmp_le_u32_e32 vcc_lo, s20, v14
	s_delay_alu instid0(VALU_DEP_3) | instskip(SKIP_1) | instid1(VALU_DEP_4)
	v_cmp_eq_u32_e64 s0, s21, v7
	v_cndmask_b32_e64 v14, 0, -1, vcc_lo
	v_cmp_le_u32_e32 vcc_lo, s21, v9
	v_cndmask_b32_e64 v15, 0, -1, vcc_lo
	v_cmp_le_u32_e32 vcc_lo, s20, v6
	;; [unrolled: 2-line block ×3, first 2 shown]
	v_cndmask_b32_e64 v16, 0, -1, vcc_lo
	v_cmp_eq_u32_e32 vcc_lo, s21, v9
	s_delay_alu instid0(VALU_DEP_2) | instskip(SKIP_3) | instid1(VALU_DEP_3)
	v_cndmask_b32_e64 v6, v16, v6, s0
	v_cndmask_b32_e32 v9, v15, v14, vcc_lo
	v_add_co_u32 v14, vcc_lo, v3, 1
	v_add_co_ci_u32_e32 v15, vcc_lo, 0, v8, vcc_lo
	v_cmp_ne_u32_e32 vcc_lo, 0, v9
	s_delay_alu instid0(VALU_DEP_2) | instskip(NEXT) | instid1(VALU_DEP_4)
	v_cndmask_b32_e32 v7, v15, v12, vcc_lo
	v_cndmask_b32_e32 v9, v14, v11, vcc_lo
	v_cmp_ne_u32_e32 vcc_lo, 0, v6
	v_xor_b32_e32 v11, s18, v13
	s_delay_alu instid0(VALU_DEP_3) | instskip(NEXT) | instid1(VALU_DEP_1)
	v_dual_cndmask_b32 v3, v3, v9 :: v_dual_cndmask_b32 v6, v8, v7
	v_xor_b32_e32 v3, v3, v11
	s_delay_alu instid0(VALU_DEP_2) | instskip(NEXT) | instid1(VALU_DEP_2)
	v_xor_b32_e32 v7, v6, v11
	v_sub_co_u32 v6, vcc_lo, v3, v11
	s_delay_alu instid0(VALU_DEP_2)
	v_sub_co_ci_u32_e32 v7, vcc_lo, v7, v11, vcc_lo
.LBB0_5:                                ;   in Loop: Header=BB0_3 Depth=1
	s_and_not1_saveexec_b32 s0, s28
; %bb.6:                                ;   in Loop: Header=BB0_3 Depth=1
	v_mul_hi_u32 v3, v4, v10
	s_delay_alu instid0(VALU_DEP_1) | instskip(NEXT) | instid1(VALU_DEP_1)
	v_mul_lo_u32 v6, v3, s16
	v_sub_nc_u32_e32 v6, v4, v6
	s_delay_alu instid0(VALU_DEP_1) | instskip(SKIP_1) | instid1(VALU_DEP_2)
	v_subrev_nc_u32_e32 v8, s16, v6
	v_cmp_le_u32_e32 vcc_lo, s16, v6
	v_dual_cndmask_b32 v6, v6, v8 :: v_dual_add_nc_u32 v7, 1, v3
	s_delay_alu instid0(VALU_DEP_1) | instskip(NEXT) | instid1(VALU_DEP_2)
	v_cndmask_b32_e32 v3, v3, v7, vcc_lo
	v_cmp_le_u32_e32 vcc_lo, s16, v6
	s_delay_alu instid0(VALU_DEP_2) | instskip(NEXT) | instid1(VALU_DEP_1)
	v_add_nc_u32_e32 v7, 1, v3
	v_dual_cndmask_b32 v6, v3, v7 :: v_dual_mov_b32 v7, v2
; %bb.7:                                ;   in Loop: Header=BB0_3 Depth=1
	s_or_b32 exec_lo, exec_lo, s0
	s_delay_alu instid0(VALU_DEP_1) | instskip(NEXT) | instid1(VALU_DEP_2)
	v_mad_u64_u32 v[8:9], null, s26, v6, v[4:5]
	v_mul_lo_u32 v3, s26, v7
	v_mul_lo_u32 v11, s27, v6
	s_delay_alu instid0(VALU_DEP_1) | instskip(NEXT) | instid1(VALU_DEP_1)
	v_add3_u32 v9, v11, v9, v3
	v_cmp_le_i64_e32 vcc_lo, s[10:11], v[8:9]
                                        ; implicit-def: $vgpr8_vgpr9
	s_and_saveexec_b32 s0, vcc_lo
	s_delay_alu instid0(SALU_CYCLE_1)
	s_xor_b32 s0, exec_lo, s0
	s_cbranch_execz .LBB0_9
; %bb.8:                                ;   in Loop: Header=BB0_3 Depth=1
	v_mul_lo_u32 v3, v7, s16
	v_mul_lo_u32 v13, v6, s17
	v_mad_u64_u32 v[8:9], null, v6, s16, 0
	v_mul_lo_u32 v7, v7, s1
	v_mul_lo_u32 v14, v6, s23
	v_mad_u64_u32 v[11:12], null, v6, s1, 0
	s_delay_alu instid0(VALU_DEP_4) | instskip(SKIP_1) | instid1(VALU_DEP_3)
	v_add3_u32 v3, v9, v13, v3
	v_sub_co_u32 v6, vcc_lo, v4, v8
	v_add3_u32 v12, v12, v14, v7
	s_delay_alu instid0(VALU_DEP_3) | instskip(NEXT) | instid1(VALU_DEP_3)
	v_sub_co_ci_u32_e32 v3, vcc_lo, v5, v3, vcc_lo
	v_sub_co_u32 v6, vcc_lo, v6, s10
	s_delay_alu instid0(VALU_DEP_3) | instskip(NEXT) | instid1(VALU_DEP_3)
	v_lshlrev_b64 v[8:9], 2, v[11:12]
	v_subrev_co_ci_u32_e32 v7, vcc_lo, s11, v3, vcc_lo
	s_delay_alu instid0(VALU_DEP_2) | instskip(NEXT) | instid1(VALU_DEP_2)
	v_add_co_u32 v3, vcc_lo, s6, v8
	v_lshlrev_b64 v[6:7], 2, v[6:7]
	s_delay_alu instid0(VALU_DEP_4) | instskip(NEXT) | instid1(VALU_DEP_2)
	v_add_co_ci_u32_e32 v9, vcc_lo, s7, v9, vcc_lo
	v_add_co_u32 v8, vcc_lo, v3, v6
	s_delay_alu instid0(VALU_DEP_2)
	v_add_co_ci_u32_e32 v9, vcc_lo, v9, v7, vcc_lo
                                        ; implicit-def: $vgpr6_vgpr7
.LBB0_9:                                ;   in Loop: Header=BB0_3 Depth=1
	s_and_not1_saveexec_b32 s0, s0
	s_cbranch_execz .LBB0_2
; %bb.10:                               ;   in Loop: Header=BB0_3 Depth=1
	v_mad_u64_u32 v[8:9], null, s24, v6, v[0:1]
	v_mul_lo_u32 v3, s24, v7
	v_mul_lo_u32 v6, s25, v6
	s_delay_alu instid0(VALU_DEP_3) | instskip(NEXT) | instid1(VALU_DEP_2)
	v_add_co_u32 v8, vcc_lo, s4, v8
	v_add3_u32 v3, v6, v9, v3
	s_delay_alu instid0(VALU_DEP_1)
	v_add_co_ci_u32_e32 v9, vcc_lo, s5, v3, vcc_lo
	s_branch .LBB0_2
.LBB0_11:
	s_nop 0
	s_sendmsg sendmsg(MSG_DEALLOC_VGPRS)
	s_endpgm
	.section	.rodata,"a",@progbits
	.p2align	6, 0x0
	.amdhsa_kernel _ZL15concat_f32_contILi0EEvPKfS1_Pfllllll
		.amdhsa_group_segment_fixed_size 0
		.amdhsa_private_segment_fixed_size 0
		.amdhsa_kernarg_size 328
		.amdhsa_user_sgpr_count 15
		.amdhsa_user_sgpr_dispatch_ptr 0
		.amdhsa_user_sgpr_queue_ptr 0
		.amdhsa_user_sgpr_kernarg_segment_ptr 1
		.amdhsa_user_sgpr_dispatch_id 0
		.amdhsa_user_sgpr_private_segment_size 0
		.amdhsa_wavefront_size32 1
		.amdhsa_uses_dynamic_stack 0
		.amdhsa_enable_private_segment 0
		.amdhsa_system_sgpr_workgroup_id_x 1
		.amdhsa_system_sgpr_workgroup_id_y 0
		.amdhsa_system_sgpr_workgroup_id_z 0
		.amdhsa_system_sgpr_workgroup_info 0
		.amdhsa_system_vgpr_workitem_id 0
		.amdhsa_next_free_vgpr 18
		.amdhsa_next_free_sgpr 29
		.amdhsa_reserve_vcc 1
		.amdhsa_float_round_mode_32 0
		.amdhsa_float_round_mode_16_64 0
		.amdhsa_float_denorm_mode_32 3
		.amdhsa_float_denorm_mode_16_64 3
		.amdhsa_dx10_clamp 1
		.amdhsa_ieee_mode 1
		.amdhsa_fp16_overflow 0
		.amdhsa_workgroup_processor_mode 1
		.amdhsa_memory_ordered 1
		.amdhsa_forward_progress 0
		.amdhsa_shared_vgpr_count 0
		.amdhsa_exception_fp_ieee_invalid_op 0
		.amdhsa_exception_fp_denorm_src 0
		.amdhsa_exception_fp_ieee_div_zero 0
		.amdhsa_exception_fp_ieee_overflow 0
		.amdhsa_exception_fp_ieee_underflow 0
		.amdhsa_exception_fp_ieee_inexact 0
		.amdhsa_exception_int_div_zero 0
	.end_amdhsa_kernel
	.section	.text._ZL15concat_f32_contILi0EEvPKfS1_Pfllllll,"axG",@progbits,_ZL15concat_f32_contILi0EEvPKfS1_Pfllllll,comdat
.Lfunc_end0:
	.size	_ZL15concat_f32_contILi0EEvPKfS1_Pfllllll, .Lfunc_end0-_ZL15concat_f32_contILi0EEvPKfS1_Pfllllll
                                        ; -- End function
	.section	.AMDGPU.csdata,"",@progbits
; Kernel info:
; codeLenInByte = 1576
; NumSgprs: 31
; NumVgprs: 18
; ScratchSize: 0
; MemoryBound: 0
; FloatMode: 240
; IeeeMode: 1
; LDSByteSize: 0 bytes/workgroup (compile time only)
; SGPRBlocks: 3
; VGPRBlocks: 2
; NumSGPRsForWavesPerEU: 31
; NumVGPRsForWavesPerEU: 18
; Occupancy: 16
; WaveLimiterHint : 0
; COMPUTE_PGM_RSRC2:SCRATCH_EN: 0
; COMPUTE_PGM_RSRC2:USER_SGPR: 15
; COMPUTE_PGM_RSRC2:TRAP_HANDLER: 0
; COMPUTE_PGM_RSRC2:TGID_X_EN: 1
; COMPUTE_PGM_RSRC2:TGID_Y_EN: 0
; COMPUTE_PGM_RSRC2:TGID_Z_EN: 0
; COMPUTE_PGM_RSRC2:TIDIG_COMP_CNT: 0
	.section	.text._ZL15concat_f32_contILi1EEvPKfS1_Pfllllll,"axG",@progbits,_ZL15concat_f32_contILi1EEvPKfS1_Pfllllll,comdat
	.globl	_ZL15concat_f32_contILi1EEvPKfS1_Pfllllll ; -- Begin function _ZL15concat_f32_contILi1EEvPKfS1_Pfllllll
	.p2align	8
	.type	_ZL15concat_f32_contILi1EEvPKfS1_Pfllllll,@function
_ZL15concat_f32_contILi1EEvPKfS1_Pfllllll: ; @_ZL15concat_f32_contILi1EEvPKfS1_Pfllllll
; %bb.0:
	s_clause 0x2
	s_load_b128 s[8:11], s[0:1], 0x30
	s_load_b64 s[2:3], s[0:1], 0x40
	s_load_b32 s6, s[0:1], 0x54
	v_mov_b32_e32 v2, 0
	s_mov_b32 s22, 0
	s_delay_alu instid0(VALU_DEP_1)
	v_mov_b32_e32 v1, v2
	s_waitcnt lgkmcnt(0)
	s_mul_i32 s4, s10, s9
	s_mul_hi_u32 s5, s10, s8
	s_mul_i32 s7, s11, s8
	s_mul_i32 s20, s10, s8
	s_add_i32 s21, s5, s4
	s_mul_i32 s3, s20, s3
	s_mul_hi_u32 s4, s20, s2
	s_add_i32 s21, s21, s7
	s_add_i32 s3, s4, s3
	s_mul_i32 s4, s21, s2
	s_mul_i32 s2, s20, s2
	s_add_i32 s3, s3, s4
	s_add_u32 s4, s0, 0x48
	s_addc_u32 s5, s1, 0
	s_and_b32 s6, s6, 0xffff
	s_mov_b32 s7, exec_lo
	v_mad_u64_u32 v[4:5], null, s6, s15, v[0:1]
	s_delay_alu instid0(VALU_DEP_1)
	v_cmpx_gt_i64_e64 s[2:3], v[4:5]
	s_cbranch_execz .LBB1_11
; %bb.1:
	s_load_b64 s[16:17], s[0:1], 0x20
	s_load_b32 s4, s[4:5], 0x0
	v_cvt_f32_u32_e32 v0, s20
	s_delay_alu instid0(VALU_DEP_1)
	v_rcp_iflag_f32_e32 v0, v0
	s_waitcnt_depctr 0xfff
	v_mul_f32_e32 v0, 0x4f7ffffe, v0
	s_waitcnt lgkmcnt(0)
	s_mul_i32 s5, s8, s17
	s_mul_hi_u32 s7, s8, s16
	s_mul_i32 s13, s9, s16
	s_add_i32 s5, s7, s5
	s_mul_i32 s12, s8, s16
	s_add_i32 s13, s5, s13
	s_mul_hi_u32 s15, s6, s4
	s_mul_i32 s14, s6, s4
	s_sub_u32 s23, s20, s12
	s_subb_u32 s24, s21, s13
	s_lshl_b64 s[4:5], s[16:17], 2
	s_lshl_b64 s[6:7], s[10:11], 2
	;; [unrolled: 1-line block ×3, first 2 shown]
	s_sub_u32 s18, s4, s6
	s_subb_u32 s4, s5, s7
	s_mul_hi_u32 s5, s8, s18
	s_mul_i32 s4, s8, s4
	s_mul_i32 s6, s9, s18
	s_add_i32 s4, s5, s4
	v_cvt_u32_f32_e32 v3, v0
	s_add_i32 s25, s4, s6
	s_sub_u32 s26, 0, s20
	s_subb_u32 s27, 0, s21
	s_sub_i32 s4, 0, s20
	s_delay_alu instid0(SALU_CYCLE_1)
	v_mul_lo_u32 v0, s4, v3
	s_clause 0x1
	s_load_b128 s[4:7], s[0:1], 0x0
	s_load_b64 s[16:17], s[0:1], 0x10
	s_mul_i32 s1, s8, s18
	s_ashr_i32 s8, s21, 31
	s_delay_alu instid0(VALU_DEP_1) | instskip(SKIP_1) | instid1(VALU_DEP_2)
	v_mul_hi_u32 v6, v3, v0
	v_lshlrev_b64 v[0:1], 2, v[4:5]
	v_add_nc_u32_e32 v10, v3, v6
	s_branch .LBB1_3
.LBB1_2:                                ;   in Loop: Header=BB1_3 Depth=1
	s_or_b32 exec_lo, exec_lo, s0
	global_load_b32 v3, v[8:9], off
	v_add_co_u32 v4, vcc_lo, v4, s14
	v_add_co_ci_u32_e32 v5, vcc_lo, s15, v5, vcc_lo
	s_waitcnt lgkmcnt(0)
	v_add_co_u32 v6, vcc_lo, s16, v0
	v_add_co_ci_u32_e32 v7, vcc_lo, s17, v1, vcc_lo
	s_delay_alu instid0(VALU_DEP_3) | instskip(SKIP_1) | instid1(VALU_DEP_1)
	v_cmp_le_i64_e32 vcc_lo, s[2:3], v[4:5]
	v_add_co_u32 v0, s0, v0, s10
	v_add_co_ci_u32_e64 v1, s0, s11, v1, s0
	s_or_b32 s22, vcc_lo, s22
	s_waitcnt vmcnt(0)
	global_store_b32 v[6:7], v3, off
	s_and_not1_b32 exec_lo, exec_lo, s22
	s_cbranch_execz .LBB1_11
.LBB1_3:                                ; =>This Inner Loop Header: Depth=1
	v_or_b32_e32 v3, s21, v5
                                        ; implicit-def: $vgpr6_vgpr7
	s_mov_b32 s0, exec_lo
	s_delay_alu instid0(VALU_DEP_1)
	v_cmpx_ne_u64_e32 0, v[2:3]
	s_xor_b32 s28, exec_lo, s0
	s_cbranch_execz .LBB1_5
; %bb.4:                                ;   in Loop: Header=BB1_3 Depth=1
	s_add_u32 s18, s20, s8
	s_mov_b32 s9, s8
	s_addc_u32 s19, s21, s8
	s_delay_alu instid0(SALU_CYCLE_1) | instskip(NEXT) | instid1(SALU_CYCLE_1)
	s_xor_b64 s[18:19], s[18:19], s[8:9]
	v_cvt_f32_u32_e32 v3, s18
	v_cvt_f32_u32_e32 v6, s19
	s_sub_u32 s0, 0, s18
	s_subb_u32 s9, 0, s19
	s_delay_alu instid0(VALU_DEP_1) | instskip(NEXT) | instid1(VALU_DEP_1)
	v_fmac_f32_e32 v3, 0x4f800000, v6
	v_rcp_f32_e32 v3, v3
	s_waitcnt_depctr 0xfff
	v_mul_f32_e32 v3, 0x5f7ffffc, v3
	s_delay_alu instid0(VALU_DEP_1) | instskip(NEXT) | instid1(VALU_DEP_1)
	v_mul_f32_e32 v6, 0x2f800000, v3
	v_trunc_f32_e32 v6, v6
	s_delay_alu instid0(VALU_DEP_1) | instskip(SKIP_1) | instid1(VALU_DEP_2)
	v_fmac_f32_e32 v3, 0xcf800000, v6
	v_cvt_u32_f32_e32 v6, v6
	v_cvt_u32_f32_e32 v3, v3
	s_delay_alu instid0(VALU_DEP_2) | instskip(NEXT) | instid1(VALU_DEP_2)
	v_mul_lo_u32 v7, s0, v6
	v_mul_hi_u32 v8, s0, v3
	v_mul_lo_u32 v9, s9, v3
	s_delay_alu instid0(VALU_DEP_2) | instskip(SKIP_1) | instid1(VALU_DEP_2)
	v_add_nc_u32_e32 v7, v8, v7
	v_mul_lo_u32 v8, s0, v3
	v_add_nc_u32_e32 v7, v7, v9
	s_delay_alu instid0(VALU_DEP_2) | instskip(NEXT) | instid1(VALU_DEP_2)
	v_mul_hi_u32 v9, v3, v8
	v_mul_lo_u32 v11, v3, v7
	v_mul_hi_u32 v12, v3, v7
	v_mul_hi_u32 v13, v6, v8
	v_mul_lo_u32 v8, v6, v8
	v_mul_hi_u32 v14, v6, v7
	v_mul_lo_u32 v7, v6, v7
	v_add_co_u32 v9, vcc_lo, v9, v11
	v_add_co_ci_u32_e32 v11, vcc_lo, 0, v12, vcc_lo
	s_delay_alu instid0(VALU_DEP_2) | instskip(NEXT) | instid1(VALU_DEP_2)
	v_add_co_u32 v8, vcc_lo, v9, v8
	v_add_co_ci_u32_e32 v8, vcc_lo, v11, v13, vcc_lo
	v_add_co_ci_u32_e32 v9, vcc_lo, 0, v14, vcc_lo
	v_ashrrev_i32_e32 v13, 31, v5
	s_delay_alu instid0(VALU_DEP_3) | instskip(NEXT) | instid1(VALU_DEP_3)
	v_add_co_u32 v7, vcc_lo, v8, v7
	v_add_co_ci_u32_e32 v8, vcc_lo, 0, v9, vcc_lo
	s_delay_alu instid0(VALU_DEP_2) | instskip(NEXT) | instid1(VALU_DEP_2)
	v_add_co_u32 v3, vcc_lo, v3, v7
	v_add_co_ci_u32_e32 v6, vcc_lo, v6, v8, vcc_lo
	s_delay_alu instid0(VALU_DEP_2) | instskip(SKIP_1) | instid1(VALU_DEP_3)
	v_mul_hi_u32 v7, s0, v3
	v_mul_lo_u32 v9, s9, v3
	v_mul_lo_u32 v8, s0, v6
	s_delay_alu instid0(VALU_DEP_1) | instskip(SKIP_1) | instid1(VALU_DEP_2)
	v_add_nc_u32_e32 v7, v7, v8
	v_mul_lo_u32 v8, s0, v3
	v_add_nc_u32_e32 v7, v7, v9
	s_delay_alu instid0(VALU_DEP_2) | instskip(NEXT) | instid1(VALU_DEP_2)
	v_mul_hi_u32 v9, v3, v8
	v_mul_lo_u32 v11, v3, v7
	v_mul_hi_u32 v12, v3, v7
	v_mul_hi_u32 v14, v6, v8
	v_mul_lo_u32 v8, v6, v8
	v_mul_hi_u32 v15, v6, v7
	v_mul_lo_u32 v7, v6, v7
	v_add_co_u32 v9, vcc_lo, v9, v11
	v_add_co_ci_u32_e32 v11, vcc_lo, 0, v12, vcc_lo
	s_delay_alu instid0(VALU_DEP_2) | instskip(NEXT) | instid1(VALU_DEP_2)
	v_add_co_u32 v8, vcc_lo, v9, v8
	v_add_co_ci_u32_e32 v8, vcc_lo, v11, v14, vcc_lo
	v_add_co_ci_u32_e32 v9, vcc_lo, 0, v15, vcc_lo
	v_add_co_u32 v11, vcc_lo, v4, v13
	v_add_co_ci_u32_e32 v12, vcc_lo, v5, v13, vcc_lo
	s_delay_alu instid0(VALU_DEP_4) | instskip(NEXT) | instid1(VALU_DEP_4)
	v_add_co_u32 v7, vcc_lo, v8, v7
	v_add_co_ci_u32_e32 v8, vcc_lo, 0, v9, vcc_lo
	s_delay_alu instid0(VALU_DEP_4) | instskip(NEXT) | instid1(VALU_DEP_3)
	v_xor_b32_e32 v14, v11, v13
	v_add_co_u32 v3, vcc_lo, v3, v7
	s_delay_alu instid0(VALU_DEP_3) | instskip(SKIP_1) | instid1(VALU_DEP_3)
	v_add_co_ci_u32_e32 v15, vcc_lo, v6, v8, vcc_lo
	v_xor_b32_e32 v16, v12, v13
	v_mul_hi_u32 v17, v14, v3
	s_delay_alu instid0(VALU_DEP_3) | instskip(NEXT) | instid1(VALU_DEP_3)
	v_mad_u64_u32 v[6:7], null, v14, v15, 0
	v_mad_u64_u32 v[8:9], null, v16, v3, 0
	;; [unrolled: 1-line block ×3, first 2 shown]
	s_delay_alu instid0(VALU_DEP_3) | instskip(NEXT) | instid1(VALU_DEP_4)
	v_add_co_u32 v3, vcc_lo, v17, v6
	v_add_co_ci_u32_e32 v6, vcc_lo, 0, v7, vcc_lo
	s_delay_alu instid0(VALU_DEP_2) | instskip(NEXT) | instid1(VALU_DEP_2)
	v_add_co_u32 v3, vcc_lo, v3, v8
	v_add_co_ci_u32_e32 v3, vcc_lo, v6, v9, vcc_lo
	v_add_co_ci_u32_e32 v6, vcc_lo, 0, v12, vcc_lo
	s_delay_alu instid0(VALU_DEP_2) | instskip(NEXT) | instid1(VALU_DEP_2)
	v_add_co_u32 v3, vcc_lo, v3, v11
	v_add_co_ci_u32_e32 v8, vcc_lo, 0, v6, vcc_lo
	s_delay_alu instid0(VALU_DEP_2) | instskip(SKIP_1) | instid1(VALU_DEP_3)
	v_mul_lo_u32 v9, s19, v3
	v_mad_u64_u32 v[6:7], null, s18, v3, 0
	v_mul_lo_u32 v11, s18, v8
	s_delay_alu instid0(VALU_DEP_2) | instskip(NEXT) | instid1(VALU_DEP_2)
	v_sub_co_u32 v6, vcc_lo, v14, v6
	v_add3_u32 v7, v7, v11, v9
	s_delay_alu instid0(VALU_DEP_1) | instskip(NEXT) | instid1(VALU_DEP_1)
	v_sub_nc_u32_e32 v9, v16, v7
	v_subrev_co_ci_u32_e64 v9, s0, s19, v9, vcc_lo
	v_add_co_u32 v11, s0, v3, 2
	s_delay_alu instid0(VALU_DEP_1) | instskip(SKIP_3) | instid1(VALU_DEP_3)
	v_add_co_ci_u32_e64 v12, s0, 0, v8, s0
	v_sub_co_u32 v14, s0, v6, s18
	v_sub_co_ci_u32_e32 v7, vcc_lo, v16, v7, vcc_lo
	v_subrev_co_ci_u32_e64 v9, s0, 0, v9, s0
	v_cmp_le_u32_e32 vcc_lo, s18, v14
	s_delay_alu instid0(VALU_DEP_3) | instskip(SKIP_1) | instid1(VALU_DEP_4)
	v_cmp_eq_u32_e64 s0, s19, v7
	v_cndmask_b32_e64 v14, 0, -1, vcc_lo
	v_cmp_le_u32_e32 vcc_lo, s19, v9
	v_cndmask_b32_e64 v15, 0, -1, vcc_lo
	v_cmp_le_u32_e32 vcc_lo, s18, v6
	;; [unrolled: 2-line block ×3, first 2 shown]
	v_cndmask_b32_e64 v16, 0, -1, vcc_lo
	v_cmp_eq_u32_e32 vcc_lo, s19, v9
	s_delay_alu instid0(VALU_DEP_2) | instskip(SKIP_3) | instid1(VALU_DEP_3)
	v_cndmask_b32_e64 v6, v16, v6, s0
	v_cndmask_b32_e32 v9, v15, v14, vcc_lo
	v_add_co_u32 v14, vcc_lo, v3, 1
	v_add_co_ci_u32_e32 v15, vcc_lo, 0, v8, vcc_lo
	v_cmp_ne_u32_e32 vcc_lo, 0, v9
	s_delay_alu instid0(VALU_DEP_2) | instskip(NEXT) | instid1(VALU_DEP_4)
	v_cndmask_b32_e32 v7, v15, v12, vcc_lo
	v_cndmask_b32_e32 v9, v14, v11, vcc_lo
	v_cmp_ne_u32_e32 vcc_lo, 0, v6
	v_xor_b32_e32 v11, s8, v13
	s_delay_alu instid0(VALU_DEP_3) | instskip(NEXT) | instid1(VALU_DEP_1)
	v_dual_cndmask_b32 v3, v3, v9 :: v_dual_cndmask_b32 v6, v8, v7
	v_xor_b32_e32 v3, v3, v11
	s_delay_alu instid0(VALU_DEP_2) | instskip(NEXT) | instid1(VALU_DEP_2)
	v_xor_b32_e32 v7, v6, v11
	v_sub_co_u32 v6, vcc_lo, v3, v11
	s_delay_alu instid0(VALU_DEP_2)
	v_sub_co_ci_u32_e32 v7, vcc_lo, v7, v11, vcc_lo
.LBB1_5:                                ;   in Loop: Header=BB1_3 Depth=1
	s_and_not1_saveexec_b32 s0, s28
; %bb.6:                                ;   in Loop: Header=BB1_3 Depth=1
	v_mul_hi_u32 v3, v4, v10
	s_delay_alu instid0(VALU_DEP_1) | instskip(NEXT) | instid1(VALU_DEP_1)
	v_mul_lo_u32 v6, v3, s20
	v_sub_nc_u32_e32 v6, v4, v6
	s_delay_alu instid0(VALU_DEP_1) | instskip(SKIP_1) | instid1(VALU_DEP_2)
	v_subrev_nc_u32_e32 v8, s20, v6
	v_cmp_le_u32_e32 vcc_lo, s20, v6
	v_dual_cndmask_b32 v6, v6, v8 :: v_dual_add_nc_u32 v7, 1, v3
	s_delay_alu instid0(VALU_DEP_1) | instskip(NEXT) | instid1(VALU_DEP_2)
	v_cndmask_b32_e32 v3, v3, v7, vcc_lo
	v_cmp_le_u32_e32 vcc_lo, s20, v6
	s_delay_alu instid0(VALU_DEP_2) | instskip(NEXT) | instid1(VALU_DEP_1)
	v_add_nc_u32_e32 v7, 1, v3
	v_dual_cndmask_b32 v6, v3, v7 :: v_dual_mov_b32 v7, v2
; %bb.7:                                ;   in Loop: Header=BB1_3 Depth=1
	s_or_b32 exec_lo, exec_lo, s0
	s_delay_alu instid0(VALU_DEP_1) | instskip(NEXT) | instid1(VALU_DEP_2)
	v_mad_u64_u32 v[8:9], null, s26, v6, v[4:5]
	v_mul_lo_u32 v3, s26, v7
	v_mul_lo_u32 v11, s27, v6
	s_delay_alu instid0(VALU_DEP_1) | instskip(NEXT) | instid1(VALU_DEP_1)
	v_add3_u32 v9, v11, v9, v3
	v_cmp_le_i64_e32 vcc_lo, s[12:13], v[8:9]
                                        ; implicit-def: $vgpr8_vgpr9
	s_and_saveexec_b32 s0, vcc_lo
	s_delay_alu instid0(SALU_CYCLE_1)
	s_xor_b32 s0, exec_lo, s0
	s_cbranch_execz .LBB1_9
; %bb.8:                                ;   in Loop: Header=BB1_3 Depth=1
	v_mul_lo_u32 v3, v7, s20
	v_mul_lo_u32 v13, v6, s21
	v_mad_u64_u32 v[8:9], null, v6, s20, 0
	v_mul_lo_u32 v7, v7, s23
	v_mul_lo_u32 v14, v6, s24
	v_mad_u64_u32 v[11:12], null, v6, s23, 0
	s_delay_alu instid0(VALU_DEP_4) | instskip(SKIP_1) | instid1(VALU_DEP_3)
	v_add3_u32 v3, v9, v13, v3
	v_sub_co_u32 v6, vcc_lo, v4, v8
	v_add3_u32 v12, v12, v14, v7
	s_delay_alu instid0(VALU_DEP_3) | instskip(NEXT) | instid1(VALU_DEP_3)
	v_sub_co_ci_u32_e32 v3, vcc_lo, v5, v3, vcc_lo
	v_sub_co_u32 v6, vcc_lo, v6, s12
	s_delay_alu instid0(VALU_DEP_3) | instskip(NEXT) | instid1(VALU_DEP_3)
	v_lshlrev_b64 v[8:9], 2, v[11:12]
	v_subrev_co_ci_u32_e32 v7, vcc_lo, s13, v3, vcc_lo
	s_waitcnt lgkmcnt(0)
	s_delay_alu instid0(VALU_DEP_2) | instskip(NEXT) | instid1(VALU_DEP_2)
	v_add_co_u32 v3, vcc_lo, s6, v8
	v_lshlrev_b64 v[6:7], 2, v[6:7]
	s_delay_alu instid0(VALU_DEP_4) | instskip(NEXT) | instid1(VALU_DEP_2)
	v_add_co_ci_u32_e32 v9, vcc_lo, s7, v9, vcc_lo
	v_add_co_u32 v8, vcc_lo, v3, v6
	s_delay_alu instid0(VALU_DEP_2)
	v_add_co_ci_u32_e32 v9, vcc_lo, v9, v7, vcc_lo
                                        ; implicit-def: $vgpr6_vgpr7
.LBB1_9:                                ;   in Loop: Header=BB1_3 Depth=1
	s_and_not1_saveexec_b32 s0, s0
	s_cbranch_execz .LBB1_2
; %bb.10:                               ;   in Loop: Header=BB1_3 Depth=1
	v_mad_u64_u32 v[8:9], null, s1, v6, v[0:1]
	v_mul_lo_u32 v3, s1, v7
	v_mul_lo_u32 v6, s25, v6
	s_waitcnt lgkmcnt(0)
	s_delay_alu instid0(VALU_DEP_3) | instskip(NEXT) | instid1(VALU_DEP_2)
	v_add_co_u32 v8, vcc_lo, s4, v8
	v_add3_u32 v3, v6, v9, v3
	s_delay_alu instid0(VALU_DEP_1)
	v_add_co_ci_u32_e32 v9, vcc_lo, s5, v3, vcc_lo
	s_branch .LBB1_2
.LBB1_11:
	s_nop 0
	s_sendmsg sendmsg(MSG_DEALLOC_VGPRS)
	s_endpgm
	.section	.rodata,"a",@progbits
	.p2align	6, 0x0
	.amdhsa_kernel _ZL15concat_f32_contILi1EEvPKfS1_Pfllllll
		.amdhsa_group_segment_fixed_size 0
		.amdhsa_private_segment_fixed_size 0
		.amdhsa_kernarg_size 328
		.amdhsa_user_sgpr_count 15
		.amdhsa_user_sgpr_dispatch_ptr 0
		.amdhsa_user_sgpr_queue_ptr 0
		.amdhsa_user_sgpr_kernarg_segment_ptr 1
		.amdhsa_user_sgpr_dispatch_id 0
		.amdhsa_user_sgpr_private_segment_size 0
		.amdhsa_wavefront_size32 1
		.amdhsa_uses_dynamic_stack 0
		.amdhsa_enable_private_segment 0
		.amdhsa_system_sgpr_workgroup_id_x 1
		.amdhsa_system_sgpr_workgroup_id_y 0
		.amdhsa_system_sgpr_workgroup_id_z 0
		.amdhsa_system_sgpr_workgroup_info 0
		.amdhsa_system_vgpr_workitem_id 0
		.amdhsa_next_free_vgpr 18
		.amdhsa_next_free_sgpr 29
		.amdhsa_reserve_vcc 1
		.amdhsa_float_round_mode_32 0
		.amdhsa_float_round_mode_16_64 0
		.amdhsa_float_denorm_mode_32 3
		.amdhsa_float_denorm_mode_16_64 3
		.amdhsa_dx10_clamp 1
		.amdhsa_ieee_mode 1
		.amdhsa_fp16_overflow 0
		.amdhsa_workgroup_processor_mode 1
		.amdhsa_memory_ordered 1
		.amdhsa_forward_progress 0
		.amdhsa_shared_vgpr_count 0
		.amdhsa_exception_fp_ieee_invalid_op 0
		.amdhsa_exception_fp_denorm_src 0
		.amdhsa_exception_fp_ieee_div_zero 0
		.amdhsa_exception_fp_ieee_overflow 0
		.amdhsa_exception_fp_ieee_underflow 0
		.amdhsa_exception_fp_ieee_inexact 0
		.amdhsa_exception_int_div_zero 0
	.end_amdhsa_kernel
	.section	.text._ZL15concat_f32_contILi1EEvPKfS1_Pfllllll,"axG",@progbits,_ZL15concat_f32_contILi1EEvPKfS1_Pfllllll,comdat
.Lfunc_end1:
	.size	_ZL15concat_f32_contILi1EEvPKfS1_Pfllllll, .Lfunc_end1-_ZL15concat_f32_contILi1EEvPKfS1_Pfllllll
                                        ; -- End function
	.section	.AMDGPU.csdata,"",@progbits
; Kernel info:
; codeLenInByte = 1660
; NumSgprs: 31
; NumVgprs: 18
; ScratchSize: 0
; MemoryBound: 0
; FloatMode: 240
; IeeeMode: 1
; LDSByteSize: 0 bytes/workgroup (compile time only)
; SGPRBlocks: 3
; VGPRBlocks: 2
; NumSGPRsForWavesPerEU: 31
; NumVGPRsForWavesPerEU: 18
; Occupancy: 16
; WaveLimiterHint : 0
; COMPUTE_PGM_RSRC2:SCRATCH_EN: 0
; COMPUTE_PGM_RSRC2:USER_SGPR: 15
; COMPUTE_PGM_RSRC2:TRAP_HANDLER: 0
; COMPUTE_PGM_RSRC2:TGID_X_EN: 1
; COMPUTE_PGM_RSRC2:TGID_Y_EN: 0
; COMPUTE_PGM_RSRC2:TGID_Z_EN: 0
; COMPUTE_PGM_RSRC2:TIDIG_COMP_CNT: 0
	.section	.text._ZL15concat_f32_contILi2EEvPKfS1_Pfllllll,"axG",@progbits,_ZL15concat_f32_contILi2EEvPKfS1_Pfllllll,comdat
	.globl	_ZL15concat_f32_contILi2EEvPKfS1_Pfllllll ; -- Begin function _ZL15concat_f32_contILi2EEvPKfS1_Pfllllll
	.p2align	8
	.type	_ZL15concat_f32_contILi2EEvPKfS1_Pfllllll,@function
_ZL15concat_f32_contILi2EEvPKfS1_Pfllllll: ; @_ZL15concat_f32_contILi2EEvPKfS1_Pfllllll
; %bb.0:
	s_clause 0x1
	s_load_b256 s[4:11], s[0:1], 0x28
	s_load_b32 s2, s[0:1], 0x54
	s_mov_b32 s12, 0
	s_waitcnt lgkmcnt(0)
	s_mul_i32 s3, s8, s7
	s_mul_hi_u32 s7, s8, s6
	s_mul_i32 s9, s9, s6
	s_mul_i32 s13, s8, s6
	s_add_i32 s14, s7, s3
	s_mul_i32 s3, s13, s11
	s_mul_hi_u32 s6, s13, s10
	s_add_i32 s14, s14, s9
	s_add_i32 s3, s6, s3
	s_mul_i32 s6, s14, s10
	s_delay_alu instid0(SALU_CYCLE_1) | instskip(SKIP_3) | instid1(SALU_CYCLE_1)
	s_add_i32 s3, s3, s6
	s_add_u32 s8, s0, 0x48
	s_addc_u32 s9, s1, 0
	s_and_b32 s11, s2, 0xffff
	s_mul_i32 s6, s11, s15
	s_mul_hi_u32 s7, s11, s15
	v_add_co_u32 v1, s2, s6, v0
	s_delay_alu instid0(VALU_DEP_1) | instskip(SKIP_2) | instid1(VALU_DEP_1)
	v_add_co_ci_u32_e64 v2, null, s7, 0, s2
	s_mul_i32 s2, s13, s10
	s_mov_b32 s10, exec_lo
	v_cmpx_gt_i64_e64 s[2:3], v[1:2]
	s_cbranch_execz .LBB2_3
; %bb.1:
	s_load_b32 s8, s[8:9], 0x0
	s_clause 0x1
	s_load_b64 s[20:21], s[0:1], 0x10
	s_load_b128 s[16:19], s[0:1], 0x0
	s_mul_i32 s0, s13, s5
	s_mul_hi_u32 s1, s13, s4
	s_mul_i32 s14, s14, s4
	s_add_i32 s0, s1, s0
	v_lshlrev_b32_e32 v6, 2, v0
	s_mul_i32 s4, s13, s4
	s_add_i32 s5, s0, s14
	s_lshl_b64 s[6:7], s[6:7], 2
	s_lshl_b64 s[0:1], s[4:5], 2
	s_delay_alu instid0(SALU_CYCLE_1) | instskip(NEXT) | instid1(VALU_DEP_1)
	v_sub_co_u32 v4, s0, v6, s0
	v_sub_co_ci_u32_e64 v5, null, 0, s1, s0
	s_waitcnt lgkmcnt(0)
	s_mul_hi_u32 s9, s11, s8
	v_add_co_u32 v0, s0, s20, v6
	s_delay_alu instid0(VALU_DEP_1)
	v_add_co_ci_u32_e64 v3, null, s21, 0, s0
	v_add_co_u32 v4, vcc_lo, s18, v4
	v_add_co_u32 v6, s0, s16, v6
	v_add_co_ci_u32_e32 v5, vcc_lo, s19, v5, vcc_lo
	v_add_co_ci_u32_e64 v7, null, s17, 0, s0
	s_mul_i32 s8, s11, s8
	s_delay_alu instid0(SALU_CYCLE_1)
	s_lshl_b64 s[10:11], s[8:9], 2
	.p2align	6
.LBB2_2:                                ; =>This Inner Loop Header: Depth=1
	v_cmp_gt_i64_e32 vcc_lo, s[4:5], v[1:2]
	s_delay_alu instid0(VALU_DEP_2) | instskip(NEXT) | instid1(VALU_DEP_1)
	v_dual_cndmask_b32 v9, v5, v7 :: v_dual_cndmask_b32 v8, v4, v6
	v_add_co_u32 v8, vcc_lo, v8, s6
	s_delay_alu instid0(VALU_DEP_2)
	v_add_co_ci_u32_e32 v9, vcc_lo, s7, v9, vcc_lo
	v_add_co_u32 v1, vcc_lo, v1, s8
	v_add_co_ci_u32_e32 v2, vcc_lo, s9, v2, vcc_lo
	global_load_b32 v10, v[8:9], off
	v_add_co_u32 v8, s0, v0, s6
	v_cmp_le_i64_e32 vcc_lo, s[2:3], v[1:2]
	v_add_co_ci_u32_e64 v9, s0, s7, v3, s0
	s_add_u32 s6, s6, s10
	s_addc_u32 s7, s7, s11
	s_or_b32 s12, vcc_lo, s12
	s_waitcnt vmcnt(0)
	global_store_b32 v[8:9], v10, off
	s_and_not1_b32 exec_lo, exec_lo, s12
	s_cbranch_execnz .LBB2_2
.LBB2_3:
	s_nop 0
	s_sendmsg sendmsg(MSG_DEALLOC_VGPRS)
	s_endpgm
	.section	.rodata,"a",@progbits
	.p2align	6, 0x0
	.amdhsa_kernel _ZL15concat_f32_contILi2EEvPKfS1_Pfllllll
		.amdhsa_group_segment_fixed_size 0
		.amdhsa_private_segment_fixed_size 0
		.amdhsa_kernarg_size 328
		.amdhsa_user_sgpr_count 15
		.amdhsa_user_sgpr_dispatch_ptr 0
		.amdhsa_user_sgpr_queue_ptr 0
		.amdhsa_user_sgpr_kernarg_segment_ptr 1
		.amdhsa_user_sgpr_dispatch_id 0
		.amdhsa_user_sgpr_private_segment_size 0
		.amdhsa_wavefront_size32 1
		.amdhsa_uses_dynamic_stack 0
		.amdhsa_enable_private_segment 0
		.amdhsa_system_sgpr_workgroup_id_x 1
		.amdhsa_system_sgpr_workgroup_id_y 0
		.amdhsa_system_sgpr_workgroup_id_z 0
		.amdhsa_system_sgpr_workgroup_info 0
		.amdhsa_system_vgpr_workitem_id 0
		.amdhsa_next_free_vgpr 11
		.amdhsa_next_free_sgpr 22
		.amdhsa_reserve_vcc 1
		.amdhsa_float_round_mode_32 0
		.amdhsa_float_round_mode_16_64 0
		.amdhsa_float_denorm_mode_32 3
		.amdhsa_float_denorm_mode_16_64 3
		.amdhsa_dx10_clamp 1
		.amdhsa_ieee_mode 1
		.amdhsa_fp16_overflow 0
		.amdhsa_workgroup_processor_mode 1
		.amdhsa_memory_ordered 1
		.amdhsa_forward_progress 0
		.amdhsa_shared_vgpr_count 0
		.amdhsa_exception_fp_ieee_invalid_op 0
		.amdhsa_exception_fp_denorm_src 0
		.amdhsa_exception_fp_ieee_div_zero 0
		.amdhsa_exception_fp_ieee_overflow 0
		.amdhsa_exception_fp_ieee_underflow 0
		.amdhsa_exception_fp_ieee_inexact 0
		.amdhsa_exception_int_div_zero 0
	.end_amdhsa_kernel
	.section	.text._ZL15concat_f32_contILi2EEvPKfS1_Pfllllll,"axG",@progbits,_ZL15concat_f32_contILi2EEvPKfS1_Pfllllll,comdat
.Lfunc_end2:
	.size	_ZL15concat_f32_contILi2EEvPKfS1_Pfllllll, .Lfunc_end2-_ZL15concat_f32_contILi2EEvPKfS1_Pfllllll
                                        ; -- End function
	.section	.AMDGPU.csdata,"",@progbits
; Kernel info:
; codeLenInByte = 412
; NumSgprs: 24
; NumVgprs: 11
; ScratchSize: 0
; MemoryBound: 0
; FloatMode: 240
; IeeeMode: 1
; LDSByteSize: 0 bytes/workgroup (compile time only)
; SGPRBlocks: 2
; VGPRBlocks: 1
; NumSGPRsForWavesPerEU: 24
; NumVGPRsForWavesPerEU: 11
; Occupancy: 16
; WaveLimiterHint : 0
; COMPUTE_PGM_RSRC2:SCRATCH_EN: 0
; COMPUTE_PGM_RSRC2:USER_SGPR: 15
; COMPUTE_PGM_RSRC2:TRAP_HANDLER: 0
; COMPUTE_PGM_RSRC2:TGID_X_EN: 1
; COMPUTE_PGM_RSRC2:TGID_Y_EN: 0
; COMPUTE_PGM_RSRC2:TGID_Z_EN: 0
; COMPUTE_PGM_RSRC2:TIDIG_COMP_CNT: 0
	.section	.text._ZL19concat_f32_non_contILi0EEvPKcS1_Pcllllmmmmllllmmmmllllmmmm,"axG",@progbits,_ZL19concat_f32_non_contILi0EEvPKcS1_Pcllllmmmmllllmmmmllllmmmm,comdat
	.globl	_ZL19concat_f32_non_contILi0EEvPKcS1_Pcllllmmmmllllmmmmllllmmmm ; -- Begin function _ZL19concat_f32_non_contILi0EEvPKcS1_Pcllllmmmmllllmmmmllllmmmm
	.p2align	8
	.type	_ZL19concat_f32_non_contILi0EEvPKcS1_Pcllllmmmmllllmmmmllllmmmm,@function
_ZL19concat_f32_non_contILi0EEvPKcS1_Pcllllmmmmllllmmmmllllmmmm: ; @_ZL19concat_f32_non_contILi0EEvPKcS1_Pcllllmmmmllllmmmmllllmmmm
; %bb.0:
	s_mov_b32 s2, s13
	s_load_b64 s[12:13], s[0:1], 0x98
	v_mov_b32_e32 v1, 0
	s_mov_b32 s3, exec_lo
	s_waitcnt lgkmcnt(0)
	s_delay_alu instid0(VALU_DEP_1)
	v_cmpx_gt_i64_e64 s[12:13], v[0:1]
	s_cbranch_execz .LBB3_5
; %bb.1:
	s_clause 0x5
	s_load_b256 s[4:11], s[0:1], 0x78
	s_load_b64 s[48:49], s[0:1], 0x50
	s_load_b128 s[44:47], s[0:1], 0x40
	s_load_b512 s[16:31], s[0:1], 0x0
	s_load_b256 s[36:43], s[0:1], 0xb8
	s_load_b32 s0, s[0:1], 0xe4
	s_mov_b32 s34, s15
	s_waitcnt lgkmcnt(0)
	s_mul_i32 s3, s15, s11
	s_mul_hi_u32 s11, s15, s10
	s_mul_i32 s10, s15, s10
	s_mul_i32 s9, s14, s9
	s_mul_hi_u32 s15, s14, s8
	s_mul_i32 s7, s2, s7
	s_mul_hi_u32 s33, s2, s6
	s_mul_i32 s35, s2, s6
	s_mul_i32 s6, s34, s49
	s_mul_hi_u32 s49, s34, s48
	s_mul_i32 s48, s34, s48
	s_mul_i32 s47, s14, s47
	s_mul_hi_u32 s50, s14, s46
	s_add_i32 s11, s11, s3
	s_add_i32 s15, s15, s9
	;; [unrolled: 1-line block ×4, first 2 shown]
	s_add_u32 s3, s16, s48
	s_mul_i32 s7, s14, s46
	s_addc_u32 s6, s17, s49
	s_add_i32 s50, s50, s47
	s_add_u32 s3, s3, s7
	s_addc_u32 s1, s6, s50
	s_mul_i32 s6, s2, s45
	s_mul_hi_u32 s7, s2, s44
	s_mul_i32 s9, s2, s44
	s_add_i32 s7, s7, s6
	s_add_u32 s6, s3, s9
	s_mul_i32 s3, s34, s43
	s_mul_hi_u32 s9, s34, s42
	s_addc_u32 s7, s1, s7
	s_add_i32 s9, s9, s3
	s_mul_i32 s1, s14, s41
	s_mul_hi_u32 s3, s14, s40
	s_mul_hi_u32 s17, s2, s38
	s_add_i32 s3, s3, s1
	s_mul_i32 s1, s2, s39
	s_mul_i32 s8, s14, s8
	s_add_i32 s17, s17, s1
	s_and_b32 s1, s0, 0xffff
	s_add_u32 s0, s18, s35
	s_addc_u32 s18, s19, s33
	s_add_u32 s0, s0, s8
	s_addc_u32 s8, s18, s15
	s_add_u32 s10, s0, s10
	s_mul_i32 s0, s5, s1
	s_mul_hi_u32 s15, s4, s1
	s_mul_i32 s16, s34, s42
	s_mul_i32 s39, s14, s40
	s_addc_u32 s11, s8, s11
	s_add_i32 s8, s15, s0
	s_mul_i32 s38, s2, s38
	s_add_u32 s0, s16, s39
	s_addc_u32 s3, s9, s3
	s_add_u32 s0, s0, s38
	s_addc_u32 s3, s3, s17
	s_add_u32 s16, s20, s0
	v_sub_co_u32 v6, s0, v0, s22
	s_addc_u32 s17, s21, s3
	v_sub_co_ci_u32_e64 v7, null, 0, s23, s0
	v_mad_u64_u32 v[2:3], null, s36, v0, s[16:17]
	s_delay_alu instid0(VALU_DEP_3) | instskip(NEXT) | instid1(VALU_DEP_3)
	v_mad_u64_u32 v[4:5], null, s4, v6, s[10:11]
	v_mul_lo_u32 v8, s4, v7
	v_mul_lo_u32 v9, s5, v6
	s_mov_b32 s3, 0
	s_mul_i32 s0, s37, s1
	s_mov_b32 s15, s3
	s_mov_b32 s35, s3
	s_delay_alu instid0(VALU_DEP_3)
	v_mad_u64_u32 v[6:7], null, s37, v0, v[3:4]
	v_cmp_lt_i64_e64 s2, s[2:3], s[24:25]
	v_cmp_lt_i64_e64 s5, s[14:15], s[26:27]
	;; [unrolled: 1-line block ×3, first 2 shown]
	v_add3_u32 v5, v9, v5, v8
	s_mul_hi_u32 s10, s36, s1
	s_mul_i32 s4, s4, s1
	v_mov_b32_e32 v3, v6
	s_add_i32 s10, s10, s0
	s_mul_i32 s11, s36, s1
	s_set_inst_prefetch_distance 0x1
	s_branch .LBB3_3
	.p2align	6
.LBB3_2:                                ;   in Loop: Header=BB3_3 Depth=1
	s_or_b32 exec_lo, exec_lo, s0
	global_load_b32 v6, v[6:7], off
	v_add_co_u32 v0, vcc_lo, v0, s1
	v_add_co_ci_u32_e32 v1, vcc_lo, 0, v1, vcc_lo
	v_add_co_u32 v4, vcc_lo, v4, s4
	v_add_co_ci_u32_e32 v5, vcc_lo, s8, v5, vcc_lo
	s_delay_alu instid0(VALU_DEP_3) | instskip(SKIP_4) | instid1(VALU_DEP_1)
	v_cmp_le_i64_e32 vcc_lo, s[12:13], v[0:1]
	s_or_b32 s3, vcc_lo, s3
	s_waitcnt vmcnt(0)
	global_store_b32 v[2:3], v6, off
	v_add_co_u32 v2, s0, v2, s11
	v_add_co_ci_u32_e64 v3, s0, s10, v3, s0
	s_and_not1_b32 exec_lo, exec_lo, s3
	s_cbranch_execz .LBB3_5
.LBB3_3:                                ; =>This Inner Loop Header: Depth=1
	v_cmp_gt_i64_e32 vcc_lo, s[22:23], v[0:1]
	v_dual_mov_b32 v7, v5 :: v_dual_mov_b32 v6, v4
	s_and_b32 s0, s2, vcc_lo
	s_delay_alu instid0(SALU_CYCLE_1) | instskip(NEXT) | instid1(SALU_CYCLE_1)
	s_and_b32 s0, s5, s0
	s_and_b32 s14, s9, s0
	s_delay_alu instid0(SALU_CYCLE_1)
	s_and_saveexec_b32 s0, s14
	s_cbranch_execz .LBB3_2
; %bb.4:                                ;   in Loop: Header=BB3_3 Depth=1
	v_mad_u64_u32 v[6:7], null, v0, s30, s[6:7]
	v_mul_lo_u32 v8, v0, s31
	v_mul_lo_u32 v9, v1, s30
	s_delay_alu instid0(VALU_DEP_1)
	v_add3_u32 v7, v9, v7, v8
	s_branch .LBB3_2
.LBB3_5:
	s_set_inst_prefetch_distance 0x2
	s_nop 0
	s_sendmsg sendmsg(MSG_DEALLOC_VGPRS)
	s_endpgm
	.section	.rodata,"a",@progbits
	.p2align	6, 0x0
	.amdhsa_kernel _ZL19concat_f32_non_contILi0EEvPKcS1_Pcllllmmmmllllmmmmllllmmmm
		.amdhsa_group_segment_fixed_size 0
		.amdhsa_private_segment_fixed_size 0
		.amdhsa_kernarg_size 472
		.amdhsa_user_sgpr_count 13
		.amdhsa_user_sgpr_dispatch_ptr 0
		.amdhsa_user_sgpr_queue_ptr 0
		.amdhsa_user_sgpr_kernarg_segment_ptr 1
		.amdhsa_user_sgpr_dispatch_id 0
		.amdhsa_user_sgpr_private_segment_size 0
		.amdhsa_wavefront_size32 1
		.amdhsa_uses_dynamic_stack 0
		.amdhsa_enable_private_segment 0
		.amdhsa_system_sgpr_workgroup_id_x 1
		.amdhsa_system_sgpr_workgroup_id_y 1
		.amdhsa_system_sgpr_workgroup_id_z 1
		.amdhsa_system_sgpr_workgroup_info 0
		.amdhsa_system_vgpr_workitem_id 0
		.amdhsa_next_free_vgpr 10
		.amdhsa_next_free_sgpr 51
		.amdhsa_reserve_vcc 1
		.amdhsa_float_round_mode_32 0
		.amdhsa_float_round_mode_16_64 0
		.amdhsa_float_denorm_mode_32 3
		.amdhsa_float_denorm_mode_16_64 3
		.amdhsa_dx10_clamp 1
		.amdhsa_ieee_mode 1
		.amdhsa_fp16_overflow 0
		.amdhsa_workgroup_processor_mode 1
		.amdhsa_memory_ordered 1
		.amdhsa_forward_progress 0
		.amdhsa_shared_vgpr_count 0
		.amdhsa_exception_fp_ieee_invalid_op 0
		.amdhsa_exception_fp_denorm_src 0
		.amdhsa_exception_fp_ieee_div_zero 0
		.amdhsa_exception_fp_ieee_overflow 0
		.amdhsa_exception_fp_ieee_underflow 0
		.amdhsa_exception_fp_ieee_inexact 0
		.amdhsa_exception_int_div_zero 0
	.end_amdhsa_kernel
	.section	.text._ZL19concat_f32_non_contILi0EEvPKcS1_Pcllllmmmmllllmmmmllllmmmm,"axG",@progbits,_ZL19concat_f32_non_contILi0EEvPKcS1_Pcllllmmmmllllmmmmllllmmmm,comdat
.Lfunc_end3:
	.size	_ZL19concat_f32_non_contILi0EEvPKcS1_Pcllllmmmmllllmmmmllllmmmm, .Lfunc_end3-_ZL19concat_f32_non_contILi0EEvPKcS1_Pcllllmmmmllllmmmmllllmmmm
                                        ; -- End function
	.section	.AMDGPU.csdata,"",@progbits
; Kernel info:
; codeLenInByte = 656
; NumSgprs: 53
; NumVgprs: 10
; ScratchSize: 0
; MemoryBound: 0
; FloatMode: 240
; IeeeMode: 1
; LDSByteSize: 0 bytes/workgroup (compile time only)
; SGPRBlocks: 6
; VGPRBlocks: 1
; NumSGPRsForWavesPerEU: 53
; NumVGPRsForWavesPerEU: 10
; Occupancy: 16
; WaveLimiterHint : 1
; COMPUTE_PGM_RSRC2:SCRATCH_EN: 0
; COMPUTE_PGM_RSRC2:USER_SGPR: 13
; COMPUTE_PGM_RSRC2:TRAP_HANDLER: 0
; COMPUTE_PGM_RSRC2:TGID_X_EN: 1
; COMPUTE_PGM_RSRC2:TGID_Y_EN: 1
; COMPUTE_PGM_RSRC2:TGID_Z_EN: 1
; COMPUTE_PGM_RSRC2:TIDIG_COMP_CNT: 0
	.section	.text._ZL19concat_f32_non_contILi1EEvPKcS1_Pcllllmmmmllllmmmmllllmmmm,"axG",@progbits,_ZL19concat_f32_non_contILi1EEvPKcS1_Pcllllmmmmllllmmmmllllmmmm,comdat
	.globl	_ZL19concat_f32_non_contILi1EEvPKcS1_Pcllllmmmmllllmmmmllllmmmm ; -- Begin function _ZL19concat_f32_non_contILi1EEvPKcS1_Pcllllmmmmllllmmmmllllmmmm
	.p2align	8
	.type	_ZL19concat_f32_non_contILi1EEvPKcS1_Pcllllmmmmllllmmmmllllmmmm,@function
_ZL19concat_f32_non_contILi1EEvPKcS1_Pcllllmmmmllllmmmmllllmmmm: ; @_ZL19concat_f32_non_contILi1EEvPKcS1_Pcllllmmmmllllmmmmllllmmmm
; %bb.0:
	s_mov_b32 s2, s13
	s_load_b64 s[12:13], s[0:1], 0x98
	v_mov_b32_e32 v1, 0
	s_mov_b32 s3, exec_lo
	s_waitcnt lgkmcnt(0)
	s_delay_alu instid0(VALU_DEP_1)
	v_cmpx_gt_i64_e64 s[12:13], v[0:1]
	s_cbranch_execz .LBB4_3
; %bb.1:
	s_clause 0x5
	s_load_b256 s[4:11], s[0:1], 0x78
	s_load_b64 s[48:49], s[0:1], 0x50
	s_load_b128 s[44:47], s[0:1], 0x40
	s_load_b512 s[16:31], s[0:1], 0x0
	s_load_b256 s[36:43], s[0:1], 0xb8
	s_load_b32 s0, s[0:1], 0xe4
	s_mov_b32 s34, s15
	s_waitcnt lgkmcnt(0)
	s_mul_i32 s1, s15, s11
	s_mul_hi_u32 s3, s15, s10
	s_mul_i32 s10, s15, s10
	s_mul_i32 s9, s14, s9
	s_mul_hi_u32 s11, s14, s8
	s_add_i32 s3, s3, s1
	s_mul_i32 s8, s14, s8
	s_add_u32 s1, s18, s10
	s_addc_u32 s3, s19, s3
	s_add_i32 s11, s11, s9
	s_add_u32 s1, s1, s8
	s_addc_u32 s3, s3, s11
	s_sub_u32 s8, s2, s24
	s_subb_u32 s9, 0, s25
	s_mul_i32 s7, s8, s7
	s_mul_hi_u32 s10, s8, s6
	s_mul_i32 s9, s9, s6
	s_add_i32 s7, s10, s7
	s_mul_i32 s8, s8, s6
	s_mul_i32 s15, s15, s49
	s_mul_hi_u32 s33, s34, s48
	s_add_i32 s7, s7, s9
	s_mul_i32 s35, s34, s48
	s_add_u32 s1, s1, s8
	s_mul_i32 s47, s14, s47
	s_mul_hi_u32 s48, s14, s46
	s_addc_u32 s6, s3, s7
	s_add_i32 s33, s33, s15
	s_mul_i32 s46, s14, s46
	s_add_u32 s3, s16, s35
	s_addc_u32 s7, s17, s33
	s_add_i32 s48, s48, s47
	s_mul_i32 s8, s2, s45
	s_mul_hi_u32 s9, s2, s44
	s_add_u32 s3, s3, s46
	s_mul_i32 s10, s2, s44
	s_addc_u32 s7, s7, s48
	s_add_i32 s9, s9, s8
	s_add_u32 s10, s3, s10
	s_mul_i32 s3, s34, s43
	s_mul_hi_u32 s8, s34, s42
	s_addc_u32 s11, s7, s9
	s_add_i32 s8, s8, s3
	s_mul_i32 s3, s14, s41
	s_mul_hi_u32 s7, s14, s40
	s_mul_hi_u32 s15, s2, s38
	s_add_i32 s3, s7, s3
	s_mul_i32 s7, s2, s39
	s_mul_i32 s9, s34, s42
	;; [unrolled: 1-line block ×3, first 2 shown]
	s_add_i32 s15, s15, s7
	s_and_b32 s7, s0, 0xffff
	s_mul_i32 s17, s2, s38
	s_add_u32 s0, s9, s16
	s_addc_u32 s3, s8, s3
	s_add_u32 s0, s0, s17
	s_addc_u32 s3, s3, s15
	;; [unrolled: 2-line block ×3, first 2 shown]
	s_mov_b32 s3, 0
	v_mad_u64_u32 v[2:3], null, s36, v0, s[8:9]
	s_mov_b32 s15, s3
	s_mov_b32 s35, s3
	v_cmp_lt_i64_e64 s2, s[2:3], s[24:25]
	v_cmp_lt_i64_e64 s8, s[14:15], s[26:27]
	;; [unrolled: 1-line block ×3, first 2 shown]
	v_mov_b32_e32 v6, s11
	v_mad_u64_u32 v[4:5], null, s37, v0, v[3:4]
	v_mov_b32_e32 v5, s30
	v_mov_b32_e32 v7, s10
	s_mul_i32 s0, s37, s7
	s_mul_hi_u32 s14, s36, s7
	s_mul_i32 s11, s36, s7
	s_add_i32 s10, s14, s0
	s_delay_alu instid0(VALU_DEP_3)
	v_dual_mov_b32 v3, v4 :: v_dual_mov_b32 v4, s31
	.p2align	6
.LBB4_2:                                ; =>This Inner Loop Header: Depth=1
	v_cmp_gt_i64_e32 vcc_lo, s[22:23], v[0:1]
	s_and_b32 s0, s2, vcc_lo
	s_delay_alu instid0(SALU_CYCLE_1) | instskip(NEXT) | instid1(SALU_CYCLE_1)
	s_and_b32 s0, s8, s0
	s_and_b32 vcc_lo, s9, s0
	v_cndmask_b32_e32 v10, s5, v4, vcc_lo
	v_cndmask_b32_e32 v12, s4, v5, vcc_lo
	;; [unrolled: 1-line block ×4, first 2 shown]
	s_delay_alu instid0(VALU_DEP_4) | instskip(NEXT) | instid1(VALU_DEP_2)
	v_mul_lo_u32 v13, v0, v10
	v_mad_u64_u32 v[10:11], null, v0, v12, v[8:9]
	v_mul_lo_u32 v8, v1, v12
	v_add_co_u32 v0, vcc_lo, v0, s7
	v_add_co_ci_u32_e32 v1, vcc_lo, 0, v1, vcc_lo
	s_delay_alu instid0(VALU_DEP_3) | instskip(NEXT) | instid1(VALU_DEP_2)
	v_add3_u32 v11, v8, v11, v13
	v_cmp_le_i64_e32 vcc_lo, s[12:13], v[0:1]
	global_load_b32 v8, v[10:11], off
	s_or_b32 s3, vcc_lo, s3
	s_waitcnt vmcnt(0)
	global_store_b32 v[2:3], v8, off
	v_add_co_u32 v2, s0, v2, s11
	s_delay_alu instid0(VALU_DEP_1)
	v_add_co_ci_u32_e64 v3, s0, s10, v3, s0
	s_and_not1_b32 exec_lo, exec_lo, s3
	s_cbranch_execnz .LBB4_2
.LBB4_3:
	s_nop 0
	s_sendmsg sendmsg(MSG_DEALLOC_VGPRS)
	s_endpgm
	.section	.rodata,"a",@progbits
	.p2align	6, 0x0
	.amdhsa_kernel _ZL19concat_f32_non_contILi1EEvPKcS1_Pcllllmmmmllllmmmmllllmmmm
		.amdhsa_group_segment_fixed_size 0
		.amdhsa_private_segment_fixed_size 0
		.amdhsa_kernarg_size 472
		.amdhsa_user_sgpr_count 13
		.amdhsa_user_sgpr_dispatch_ptr 0
		.amdhsa_user_sgpr_queue_ptr 0
		.amdhsa_user_sgpr_kernarg_segment_ptr 1
		.amdhsa_user_sgpr_dispatch_id 0
		.amdhsa_user_sgpr_private_segment_size 0
		.amdhsa_wavefront_size32 1
		.amdhsa_uses_dynamic_stack 0
		.amdhsa_enable_private_segment 0
		.amdhsa_system_sgpr_workgroup_id_x 1
		.amdhsa_system_sgpr_workgroup_id_y 1
		.amdhsa_system_sgpr_workgroup_id_z 1
		.amdhsa_system_sgpr_workgroup_info 0
		.amdhsa_system_vgpr_workitem_id 0
		.amdhsa_next_free_vgpr 14
		.amdhsa_next_free_sgpr 50
		.amdhsa_reserve_vcc 1
		.amdhsa_float_round_mode_32 0
		.amdhsa_float_round_mode_16_64 0
		.amdhsa_float_denorm_mode_32 3
		.amdhsa_float_denorm_mode_16_64 3
		.amdhsa_dx10_clamp 1
		.amdhsa_ieee_mode 1
		.amdhsa_fp16_overflow 0
		.amdhsa_workgroup_processor_mode 1
		.amdhsa_memory_ordered 1
		.amdhsa_forward_progress 0
		.amdhsa_shared_vgpr_count 0
		.amdhsa_exception_fp_ieee_invalid_op 0
		.amdhsa_exception_fp_denorm_src 0
		.amdhsa_exception_fp_ieee_div_zero 0
		.amdhsa_exception_fp_ieee_overflow 0
		.amdhsa_exception_fp_ieee_underflow 0
		.amdhsa_exception_fp_ieee_inexact 0
		.amdhsa_exception_int_div_zero 0
	.end_amdhsa_kernel
	.section	.text._ZL19concat_f32_non_contILi1EEvPKcS1_Pcllllmmmmllllmmmmllllmmmm,"axG",@progbits,_ZL19concat_f32_non_contILi1EEvPKcS1_Pcllllmmmmllllmmmmllllmmmm,comdat
.Lfunc_end4:
	.size	_ZL19concat_f32_non_contILi1EEvPKcS1_Pcllllmmmmllllmmmmllllmmmm, .Lfunc_end4-_ZL19concat_f32_non_contILi1EEvPKcS1_Pcllllmmmmllllmmmmllllmmmm
                                        ; -- End function
	.section	.AMDGPU.csdata,"",@progbits
; Kernel info:
; codeLenInByte = 588
; NumSgprs: 52
; NumVgprs: 14
; ScratchSize: 0
; MemoryBound: 0
; FloatMode: 240
; IeeeMode: 1
; LDSByteSize: 0 bytes/workgroup (compile time only)
; SGPRBlocks: 6
; VGPRBlocks: 1
; NumSGPRsForWavesPerEU: 52
; NumVGPRsForWavesPerEU: 14
; Occupancy: 16
; WaveLimiterHint : 1
; COMPUTE_PGM_RSRC2:SCRATCH_EN: 0
; COMPUTE_PGM_RSRC2:USER_SGPR: 13
; COMPUTE_PGM_RSRC2:TRAP_HANDLER: 0
; COMPUTE_PGM_RSRC2:TGID_X_EN: 1
; COMPUTE_PGM_RSRC2:TGID_Y_EN: 1
; COMPUTE_PGM_RSRC2:TGID_Z_EN: 1
; COMPUTE_PGM_RSRC2:TIDIG_COMP_CNT: 0
	.section	.text._ZL19concat_f32_non_contILi2EEvPKcS1_Pcllllmmmmllllmmmmllllmmmm,"axG",@progbits,_ZL19concat_f32_non_contILi2EEvPKcS1_Pcllllmmmmllllmmmmllllmmmm,comdat
	.globl	_ZL19concat_f32_non_contILi2EEvPKcS1_Pcllllmmmmllllmmmmllllmmmm ; -- Begin function _ZL19concat_f32_non_contILi2EEvPKcS1_Pcllllmmmmllllmmmmllllmmmm
	.p2align	8
	.type	_ZL19concat_f32_non_contILi2EEvPKcS1_Pcllllmmmmllllmmmmllllmmmm,@function
_ZL19concat_f32_non_contILi2EEvPKcS1_Pcllllmmmmllllmmmmllllmmmm: ; @_ZL19concat_f32_non_contILi2EEvPKcS1_Pcllllmmmmllllmmmmllllmmmm
; %bb.0:
	s_mov_b32 s2, s13
	s_load_b64 s[12:13], s[0:1], 0x98
	v_mov_b32_e32 v1, 0
	s_mov_b32 s3, exec_lo
	s_waitcnt lgkmcnt(0)
	s_delay_alu instid0(VALU_DEP_1)
	v_cmpx_gt_i64_e64 s[12:13], v[0:1]
	s_cbranch_execz .LBB5_3
; %bb.1:
	s_clause 0x5
	s_load_b256 s[4:11], s[0:1], 0x78
	s_load_b64 s[48:49], s[0:1], 0x50
	s_load_b128 s[44:47], s[0:1], 0x40
	s_load_b512 s[16:31], s[0:1], 0x0
	s_load_b256 s[36:43], s[0:1], 0xb8
	s_load_b32 s0, s[0:1], 0xe4
	s_mov_b32 s34, s15
	s_waitcnt lgkmcnt(0)
	s_mul_i32 s1, s15, s11
	s_mul_hi_u32 s3, s15, s10
	s_mul_i32 s10, s15, s10
	s_add_i32 s3, s3, s1
	s_add_u32 s1, s18, s10
	s_addc_u32 s3, s19, s3
	s_sub_u32 s10, s14, s26
	s_subb_u32 s18, 0, s27
	s_mul_i32 s9, s10, s9
	s_mul_hi_u32 s19, s10, s8
	s_mul_i32 s18, s18, s8
	s_add_i32 s9, s19, s9
	s_mul_i32 s10, s10, s8
	s_mul_i32 s7, s2, s7
	s_mul_hi_u32 s11, s2, s6
	s_add_i32 s9, s9, s18
	s_mul_i32 s6, s2, s6
	s_add_u32 s1, s1, s10
	s_mul_i32 s15, s15, s49
	s_mul_hi_u32 s33, s34, s48
	s_addc_u32 s3, s3, s9
	s_add_i32 s11, s11, s7
	s_mul_i32 s35, s34, s48
	s_add_u32 s1, s1, s6
	s_mul_i32 s47, s14, s47
	s_mul_hi_u32 s48, s14, s46
	s_addc_u32 s6, s3, s11
	s_add_i32 s33, s33, s15
	s_mul_i32 s46, s14, s46
	s_add_u32 s3, s16, s35
	s_addc_u32 s7, s17, s33
	s_add_i32 s48, s48, s47
	s_mul_i32 s8, s2, s45
	s_mul_hi_u32 s9, s2, s44
	s_add_u32 s3, s3, s46
	s_mul_i32 s10, s2, s44
	s_addc_u32 s7, s7, s48
	s_add_i32 s9, s9, s8
	s_add_u32 s10, s3, s10
	s_mul_i32 s3, s34, s43
	s_mul_hi_u32 s8, s34, s42
	s_addc_u32 s11, s7, s9
	s_add_i32 s8, s8, s3
	s_mul_i32 s3, s14, s41
	s_mul_hi_u32 s7, s14, s40
	s_mul_hi_u32 s15, s2, s38
	s_add_i32 s3, s7, s3
	s_mul_i32 s7, s2, s39
	s_mul_i32 s9, s34, s42
	;; [unrolled: 1-line block ×3, first 2 shown]
	s_add_i32 s15, s15, s7
	s_and_b32 s7, s0, 0xffff
	s_mul_i32 s17, s2, s38
	s_add_u32 s0, s9, s16
	s_addc_u32 s3, s8, s3
	s_add_u32 s0, s0, s17
	s_addc_u32 s3, s3, s15
	;; [unrolled: 2-line block ×3, first 2 shown]
	s_mov_b32 s3, 0
	v_mad_u64_u32 v[2:3], null, s36, v0, s[8:9]
	s_mov_b32 s15, s3
	s_mov_b32 s35, s3
	v_cmp_lt_i64_e64 s2, s[2:3], s[24:25]
	v_cmp_lt_i64_e64 s8, s[14:15], s[26:27]
	;; [unrolled: 1-line block ×3, first 2 shown]
	v_mov_b32_e32 v6, s11
	v_mad_u64_u32 v[4:5], null, s37, v0, v[3:4]
	v_mov_b32_e32 v5, s30
	v_mov_b32_e32 v7, s10
	s_mul_i32 s0, s37, s7
	s_mul_hi_u32 s14, s36, s7
	s_mul_i32 s11, s36, s7
	s_add_i32 s10, s14, s0
	s_delay_alu instid0(VALU_DEP_3)
	v_dual_mov_b32 v3, v4 :: v_dual_mov_b32 v4, s31
	.p2align	6
.LBB5_2:                                ; =>This Inner Loop Header: Depth=1
	v_cmp_gt_i64_e32 vcc_lo, s[22:23], v[0:1]
	s_and_b32 s0, s2, vcc_lo
	s_delay_alu instid0(SALU_CYCLE_1) | instskip(NEXT) | instid1(SALU_CYCLE_1)
	s_and_b32 s0, s8, s0
	s_and_b32 vcc_lo, s9, s0
	v_cndmask_b32_e32 v10, s5, v4, vcc_lo
	v_cndmask_b32_e32 v12, s4, v5, vcc_lo
	;; [unrolled: 1-line block ×4, first 2 shown]
	s_delay_alu instid0(VALU_DEP_4) | instskip(NEXT) | instid1(VALU_DEP_2)
	v_mul_lo_u32 v13, v0, v10
	v_mad_u64_u32 v[10:11], null, v0, v12, v[8:9]
	v_mul_lo_u32 v8, v1, v12
	v_add_co_u32 v0, vcc_lo, v0, s7
	v_add_co_ci_u32_e32 v1, vcc_lo, 0, v1, vcc_lo
	s_delay_alu instid0(VALU_DEP_3) | instskip(NEXT) | instid1(VALU_DEP_2)
	v_add3_u32 v11, v8, v11, v13
	v_cmp_le_i64_e32 vcc_lo, s[12:13], v[0:1]
	global_load_b32 v8, v[10:11], off
	s_or_b32 s3, vcc_lo, s3
	s_waitcnt vmcnt(0)
	global_store_b32 v[2:3], v8, off
	v_add_co_u32 v2, s0, v2, s11
	s_delay_alu instid0(VALU_DEP_1)
	v_add_co_ci_u32_e64 v3, s0, s10, v3, s0
	s_and_not1_b32 exec_lo, exec_lo, s3
	s_cbranch_execnz .LBB5_2
.LBB5_3:
	s_nop 0
	s_sendmsg sendmsg(MSG_DEALLOC_VGPRS)
	s_endpgm
	.section	.rodata,"a",@progbits
	.p2align	6, 0x0
	.amdhsa_kernel _ZL19concat_f32_non_contILi2EEvPKcS1_Pcllllmmmmllllmmmmllllmmmm
		.amdhsa_group_segment_fixed_size 0
		.amdhsa_private_segment_fixed_size 0
		.amdhsa_kernarg_size 472
		.amdhsa_user_sgpr_count 13
		.amdhsa_user_sgpr_dispatch_ptr 0
		.amdhsa_user_sgpr_queue_ptr 0
		.amdhsa_user_sgpr_kernarg_segment_ptr 1
		.amdhsa_user_sgpr_dispatch_id 0
		.amdhsa_user_sgpr_private_segment_size 0
		.amdhsa_wavefront_size32 1
		.amdhsa_uses_dynamic_stack 0
		.amdhsa_enable_private_segment 0
		.amdhsa_system_sgpr_workgroup_id_x 1
		.amdhsa_system_sgpr_workgroup_id_y 1
		.amdhsa_system_sgpr_workgroup_id_z 1
		.amdhsa_system_sgpr_workgroup_info 0
		.amdhsa_system_vgpr_workitem_id 0
		.amdhsa_next_free_vgpr 14
		.amdhsa_next_free_sgpr 50
		.amdhsa_reserve_vcc 1
		.amdhsa_float_round_mode_32 0
		.amdhsa_float_round_mode_16_64 0
		.amdhsa_float_denorm_mode_32 3
		.amdhsa_float_denorm_mode_16_64 3
		.amdhsa_dx10_clamp 1
		.amdhsa_ieee_mode 1
		.amdhsa_fp16_overflow 0
		.amdhsa_workgroup_processor_mode 1
		.amdhsa_memory_ordered 1
		.amdhsa_forward_progress 0
		.amdhsa_shared_vgpr_count 0
		.amdhsa_exception_fp_ieee_invalid_op 0
		.amdhsa_exception_fp_denorm_src 0
		.amdhsa_exception_fp_ieee_div_zero 0
		.amdhsa_exception_fp_ieee_overflow 0
		.amdhsa_exception_fp_ieee_underflow 0
		.amdhsa_exception_fp_ieee_inexact 0
		.amdhsa_exception_int_div_zero 0
	.end_amdhsa_kernel
	.section	.text._ZL19concat_f32_non_contILi2EEvPKcS1_Pcllllmmmmllllmmmmllllmmmm,"axG",@progbits,_ZL19concat_f32_non_contILi2EEvPKcS1_Pcllllmmmmllllmmmmllllmmmm,comdat
.Lfunc_end5:
	.size	_ZL19concat_f32_non_contILi2EEvPKcS1_Pcllllmmmmllllmmmmllllmmmm, .Lfunc_end5-_ZL19concat_f32_non_contILi2EEvPKcS1_Pcllllmmmmllllmmmmllllmmmm
                                        ; -- End function
	.section	.AMDGPU.csdata,"",@progbits
; Kernel info:
; codeLenInByte = 588
; NumSgprs: 52
; NumVgprs: 14
; ScratchSize: 0
; MemoryBound: 0
; FloatMode: 240
; IeeeMode: 1
; LDSByteSize: 0 bytes/workgroup (compile time only)
; SGPRBlocks: 6
; VGPRBlocks: 1
; NumSGPRsForWavesPerEU: 52
; NumVGPRsForWavesPerEU: 14
; Occupancy: 16
; WaveLimiterHint : 1
; COMPUTE_PGM_RSRC2:SCRATCH_EN: 0
; COMPUTE_PGM_RSRC2:USER_SGPR: 13
; COMPUTE_PGM_RSRC2:TRAP_HANDLER: 0
; COMPUTE_PGM_RSRC2:TGID_X_EN: 1
; COMPUTE_PGM_RSRC2:TGID_Y_EN: 1
; COMPUTE_PGM_RSRC2:TGID_Z_EN: 1
; COMPUTE_PGM_RSRC2:TIDIG_COMP_CNT: 0
	.section	.text._ZL19concat_f32_non_contILi3EEvPKcS1_Pcllllmmmmllllmmmmllllmmmm,"axG",@progbits,_ZL19concat_f32_non_contILi3EEvPKcS1_Pcllllmmmmllllmmmmllllmmmm,comdat
	.globl	_ZL19concat_f32_non_contILi3EEvPKcS1_Pcllllmmmmllllmmmmllllmmmm ; -- Begin function _ZL19concat_f32_non_contILi3EEvPKcS1_Pcllllmmmmllllmmmmllllmmmm
	.p2align	8
	.type	_ZL19concat_f32_non_contILi3EEvPKcS1_Pcllllmmmmllllmmmmllllmmmm,@function
_ZL19concat_f32_non_contILi3EEvPKcS1_Pcllllmmmmllllmmmmllllmmmm: ; @_ZL19concat_f32_non_contILi3EEvPKcS1_Pcllllmmmmllllmmmmllllmmmm
; %bb.0:
	s_mov_b32 s2, s13
	s_load_b64 s[12:13], s[0:1], 0x98
	v_mov_b32_e32 v1, 0
	s_mov_b32 s3, exec_lo
	s_waitcnt lgkmcnt(0)
	s_delay_alu instid0(VALU_DEP_1)
	v_cmpx_gt_i64_e64 s[12:13], v[0:1]
	s_cbranch_execz .LBB6_3
; %bb.1:
	s_clause 0x5
	s_load_b512 s[16:31], s[0:1], 0x0
	s_load_b256 s[4:11], s[0:1], 0x78
	s_load_b64 s[48:49], s[0:1], 0x50
	s_load_b128 s[44:47], s[0:1], 0x40
	s_load_b256 s[36:43], s[0:1], 0xb8
	s_load_b32 s0, s[0:1], 0xe4
	s_mov_b32 s34, s15
	s_waitcnt lgkmcnt(0)
	s_sub_u32 s3, s15, s28
	s_subb_u32 s51, 0, s29
	s_mul_i32 s11, s3, s11
	s_mul_hi_u32 s52, s3, s10
	s_mul_i32 s51, s51, s10
	s_add_i32 s11, s52, s11
	s_mul_i32 s3, s3, s10
	s_mul_i32 s9, s14, s9
	s_mul_hi_u32 s15, s14, s8
	s_add_i32 s11, s11, s51
	s_mul_i32 s8, s14, s8
	s_add_u32 s3, s18, s3
	s_mul_i32 s7, s2, s7
	s_mul_hi_u32 s33, s2, s6
	s_addc_u32 s10, s19, s11
	s_add_i32 s15, s15, s9
	s_mul_i32 s6, s2, s6
	s_add_u32 s3, s3, s8
	s_mul_i32 s35, s34, s49
	s_mul_hi_u32 s49, s34, s48
	s_addc_u32 s8, s10, s15
	;; [unrolled: 6-line block ×3, first 2 shown]
	s_add_i32 s49, s49, s35
	s_add_u32 s3, s16, s48
	s_mul_i32 s9, s14, s46
	s_addc_u32 s8, s17, s49
	s_add_i32 s50, s50, s47
	s_add_u32 s3, s3, s9
	s_addc_u32 s1, s8, s50
	s_mul_i32 s8, s2, s45
	s_mul_hi_u32 s9, s2, s44
	s_mul_i32 s10, s2, s44
	s_add_i32 s9, s9, s8
	s_add_u32 s10, s3, s10
	s_mul_i32 s3, s34, s43
	s_mul_hi_u32 s8, s34, s42
	s_addc_u32 s11, s1, s9
	s_add_i32 s8, s8, s3
	s_mul_i32 s1, s14, s41
	s_mul_hi_u32 s3, s14, s40
	s_mul_hi_u32 s15, s2, s38
	s_add_i32 s3, s3, s1
	s_mul_i32 s1, s2, s39
	s_mul_i32 s9, s34, s42
	;; [unrolled: 1-line block ×3, first 2 shown]
	s_add_i32 s15, s15, s1
	s_and_b32 s1, s0, 0xffff
	s_mul_i32 s17, s2, s38
	s_add_u32 s0, s9, s16
	s_addc_u32 s3, s8, s3
	s_add_u32 s0, s0, s17
	s_addc_u32 s3, s3, s15
	;; [unrolled: 2-line block ×3, first 2 shown]
	s_mov_b32 s3, 0
	v_mad_u64_u32 v[2:3], null, s36, v0, s[8:9]
	s_mov_b32 s15, s3
	s_mov_b32 s35, s3
	v_cmp_lt_i64_e64 s2, s[2:3], s[24:25]
	v_cmp_lt_i64_e64 s8, s[14:15], s[26:27]
	;; [unrolled: 1-line block ×3, first 2 shown]
	v_mov_b32_e32 v6, s11
	v_mad_u64_u32 v[4:5], null, s37, v0, v[3:4]
	v_mov_b32_e32 v5, s30
	v_mov_b32_e32 v7, s10
	s_mul_i32 s0, s37, s1
	s_mul_hi_u32 s14, s36, s1
	s_mul_i32 s11, s36, s1
	s_add_i32 s10, s14, s0
	s_delay_alu instid0(VALU_DEP_3)
	v_dual_mov_b32 v3, v4 :: v_dual_mov_b32 v4, s31
	.p2align	6
.LBB6_2:                                ; =>This Inner Loop Header: Depth=1
	v_cmp_gt_i64_e32 vcc_lo, s[22:23], v[0:1]
	s_and_b32 s0, s2, vcc_lo
	s_delay_alu instid0(SALU_CYCLE_1) | instskip(NEXT) | instid1(SALU_CYCLE_1)
	s_and_b32 s0, s8, s0
	s_and_b32 vcc_lo, s9, s0
	v_cndmask_b32_e32 v10, s5, v4, vcc_lo
	v_cndmask_b32_e32 v12, s4, v5, vcc_lo
	;; [unrolled: 1-line block ×4, first 2 shown]
	s_delay_alu instid0(VALU_DEP_4) | instskip(NEXT) | instid1(VALU_DEP_2)
	v_mul_lo_u32 v13, v0, v10
	v_mad_u64_u32 v[10:11], null, v0, v12, v[8:9]
	v_mul_lo_u32 v8, v1, v12
	v_add_co_u32 v0, vcc_lo, v0, s1
	v_add_co_ci_u32_e32 v1, vcc_lo, 0, v1, vcc_lo
	s_delay_alu instid0(VALU_DEP_3) | instskip(NEXT) | instid1(VALU_DEP_2)
	v_add3_u32 v11, v8, v11, v13
	v_cmp_le_i64_e32 vcc_lo, s[12:13], v[0:1]
	global_load_b32 v8, v[10:11], off
	s_or_b32 s3, vcc_lo, s3
	s_waitcnt vmcnt(0)
	global_store_b32 v[2:3], v8, off
	v_add_co_u32 v2, s0, v2, s11
	s_delay_alu instid0(VALU_DEP_1)
	v_add_co_ci_u32_e64 v3, s0, s10, v3, s0
	s_and_not1_b32 exec_lo, exec_lo, s3
	s_cbranch_execnz .LBB6_2
.LBB6_3:
	s_nop 0
	s_sendmsg sendmsg(MSG_DEALLOC_VGPRS)
	s_endpgm
	.section	.rodata,"a",@progbits
	.p2align	6, 0x0
	.amdhsa_kernel _ZL19concat_f32_non_contILi3EEvPKcS1_Pcllllmmmmllllmmmmllllmmmm
		.amdhsa_group_segment_fixed_size 0
		.amdhsa_private_segment_fixed_size 0
		.amdhsa_kernarg_size 472
		.amdhsa_user_sgpr_count 13
		.amdhsa_user_sgpr_dispatch_ptr 0
		.amdhsa_user_sgpr_queue_ptr 0
		.amdhsa_user_sgpr_kernarg_segment_ptr 1
		.amdhsa_user_sgpr_dispatch_id 0
		.amdhsa_user_sgpr_private_segment_size 0
		.amdhsa_wavefront_size32 1
		.amdhsa_uses_dynamic_stack 0
		.amdhsa_enable_private_segment 0
		.amdhsa_system_sgpr_workgroup_id_x 1
		.amdhsa_system_sgpr_workgroup_id_y 1
		.amdhsa_system_sgpr_workgroup_id_z 1
		.amdhsa_system_sgpr_workgroup_info 0
		.amdhsa_system_vgpr_workitem_id 0
		.amdhsa_next_free_vgpr 14
		.amdhsa_next_free_sgpr 53
		.amdhsa_reserve_vcc 1
		.amdhsa_float_round_mode_32 0
		.amdhsa_float_round_mode_16_64 0
		.amdhsa_float_denorm_mode_32 3
		.amdhsa_float_denorm_mode_16_64 3
		.amdhsa_dx10_clamp 1
		.amdhsa_ieee_mode 1
		.amdhsa_fp16_overflow 0
		.amdhsa_workgroup_processor_mode 1
		.amdhsa_memory_ordered 1
		.amdhsa_forward_progress 0
		.amdhsa_shared_vgpr_count 0
		.amdhsa_exception_fp_ieee_invalid_op 0
		.amdhsa_exception_fp_denorm_src 0
		.amdhsa_exception_fp_ieee_div_zero 0
		.amdhsa_exception_fp_ieee_overflow 0
		.amdhsa_exception_fp_ieee_underflow 0
		.amdhsa_exception_fp_ieee_inexact 0
		.amdhsa_exception_int_div_zero 0
	.end_amdhsa_kernel
	.section	.text._ZL19concat_f32_non_contILi3EEvPKcS1_Pcllllmmmmllllmmmmllllmmmm,"axG",@progbits,_ZL19concat_f32_non_contILi3EEvPKcS1_Pcllllmmmmllllmmmmllllmmmm,comdat
.Lfunc_end6:
	.size	_ZL19concat_f32_non_contILi3EEvPKcS1_Pcllllmmmmllllmmmmllllmmmm, .Lfunc_end6-_ZL19concat_f32_non_contILi3EEvPKcS1_Pcllllmmmmllllmmmmllllmmmm
                                        ; -- End function
	.section	.AMDGPU.csdata,"",@progbits
; Kernel info:
; codeLenInByte = 588
; NumSgprs: 55
; NumVgprs: 14
; ScratchSize: 0
; MemoryBound: 0
; FloatMode: 240
; IeeeMode: 1
; LDSByteSize: 0 bytes/workgroup (compile time only)
; SGPRBlocks: 6
; VGPRBlocks: 1
; NumSGPRsForWavesPerEU: 55
; NumVGPRsForWavesPerEU: 14
; Occupancy: 16
; WaveLimiterHint : 1
; COMPUTE_PGM_RSRC2:SCRATCH_EN: 0
; COMPUTE_PGM_RSRC2:USER_SGPR: 13
; COMPUTE_PGM_RSRC2:TRAP_HANDLER: 0
; COMPUTE_PGM_RSRC2:TGID_X_EN: 1
; COMPUTE_PGM_RSRC2:TGID_Y_EN: 1
; COMPUTE_PGM_RSRC2:TGID_Z_EN: 1
; COMPUTE_PGM_RSRC2:TIDIG_COMP_CNT: 0
	.text
	.p2alignl 7, 3214868480
	.fill 96, 4, 3214868480
	.type	__hip_cuid_b5e5686306cfbf90,@object ; @__hip_cuid_b5e5686306cfbf90
	.section	.bss,"aw",@nobits
	.globl	__hip_cuid_b5e5686306cfbf90
__hip_cuid_b5e5686306cfbf90:
	.byte	0                               ; 0x0
	.size	__hip_cuid_b5e5686306cfbf90, 1

	.ident	"AMD clang version 19.0.0git (https://github.com/RadeonOpenCompute/llvm-project roc-6.4.0 25133 c7fe45cf4b819c5991fe208aaa96edf142730f1d)"
	.section	".note.GNU-stack","",@progbits
	.addrsig
	.addrsig_sym __hip_cuid_b5e5686306cfbf90
	.amdgpu_metadata
---
amdhsa.kernels:
  - .args:
      - .address_space:  global
        .offset:         0
        .size:           8
        .value_kind:     global_buffer
      - .address_space:  global
        .offset:         8
        .size:           8
        .value_kind:     global_buffer
      - .address_space:  global
        .offset:         16
        .size:           8
        .value_kind:     global_buffer
      - .offset:         24
        .size:           8
        .value_kind:     by_value
      - .offset:         32
        .size:           8
        .value_kind:     by_value
      - .offset:         40
        .size:           8
        .value_kind:     by_value
      - .offset:         48
        .size:           8
        .value_kind:     by_value
      - .offset:         56
        .size:           8
        .value_kind:     by_value
      - .offset:         64
        .size:           8
        .value_kind:     by_value
      - .offset:         72
        .size:           4
        .value_kind:     hidden_block_count_x
      - .offset:         76
        .size:           4
        .value_kind:     hidden_block_count_y
      - .offset:         80
        .size:           4
        .value_kind:     hidden_block_count_z
      - .offset:         84
        .size:           2
        .value_kind:     hidden_group_size_x
      - .offset:         86
        .size:           2
        .value_kind:     hidden_group_size_y
      - .offset:         88
        .size:           2
        .value_kind:     hidden_group_size_z
      - .offset:         90
        .size:           2
        .value_kind:     hidden_remainder_x
      - .offset:         92
        .size:           2
        .value_kind:     hidden_remainder_y
      - .offset:         94
        .size:           2
        .value_kind:     hidden_remainder_z
      - .offset:         112
        .size:           8
        .value_kind:     hidden_global_offset_x
      - .offset:         120
        .size:           8
        .value_kind:     hidden_global_offset_y
      - .offset:         128
        .size:           8
        .value_kind:     hidden_global_offset_z
      - .offset:         136
        .size:           2
        .value_kind:     hidden_grid_dims
    .group_segment_fixed_size: 0
    .kernarg_segment_align: 8
    .kernarg_segment_size: 328
    .language:       OpenCL C
    .language_version:
      - 2
      - 0
    .max_flat_workgroup_size: 256
    .name:           _ZL15concat_f32_contILi0EEvPKfS1_Pfllllll
    .private_segment_fixed_size: 0
    .sgpr_count:     31
    .sgpr_spill_count: 0
    .symbol:         _ZL15concat_f32_contILi0EEvPKfS1_Pfllllll.kd
    .uniform_work_group_size: 1
    .uses_dynamic_stack: false
    .vgpr_count:     18
    .vgpr_spill_count: 0
    .wavefront_size: 32
    .workgroup_processor_mode: 1
  - .args:
      - .address_space:  global
        .offset:         0
        .size:           8
        .value_kind:     global_buffer
      - .address_space:  global
        .offset:         8
        .size:           8
        .value_kind:     global_buffer
      - .address_space:  global
        .offset:         16
        .size:           8
        .value_kind:     global_buffer
      - .offset:         24
        .size:           8
        .value_kind:     by_value
      - .offset:         32
        .size:           8
        .value_kind:     by_value
      - .offset:         40
        .size:           8
        .value_kind:     by_value
      - .offset:         48
        .size:           8
        .value_kind:     by_value
      - .offset:         56
        .size:           8
        .value_kind:     by_value
      - .offset:         64
        .size:           8
        .value_kind:     by_value
      - .offset:         72
        .size:           4
        .value_kind:     hidden_block_count_x
      - .offset:         76
        .size:           4
        .value_kind:     hidden_block_count_y
      - .offset:         80
        .size:           4
        .value_kind:     hidden_block_count_z
      - .offset:         84
        .size:           2
        .value_kind:     hidden_group_size_x
      - .offset:         86
        .size:           2
        .value_kind:     hidden_group_size_y
      - .offset:         88
        .size:           2
        .value_kind:     hidden_group_size_z
      - .offset:         90
        .size:           2
        .value_kind:     hidden_remainder_x
      - .offset:         92
        .size:           2
        .value_kind:     hidden_remainder_y
      - .offset:         94
        .size:           2
        .value_kind:     hidden_remainder_z
      - .offset:         112
        .size:           8
        .value_kind:     hidden_global_offset_x
      - .offset:         120
        .size:           8
        .value_kind:     hidden_global_offset_y
      - .offset:         128
        .size:           8
        .value_kind:     hidden_global_offset_z
      - .offset:         136
        .size:           2
        .value_kind:     hidden_grid_dims
    .group_segment_fixed_size: 0
    .kernarg_segment_align: 8
    .kernarg_segment_size: 328
    .language:       OpenCL C
    .language_version:
      - 2
      - 0
    .max_flat_workgroup_size: 256
    .name:           _ZL15concat_f32_contILi1EEvPKfS1_Pfllllll
    .private_segment_fixed_size: 0
    .sgpr_count:     31
    .sgpr_spill_count: 0
    .symbol:         _ZL15concat_f32_contILi1EEvPKfS1_Pfllllll.kd
    .uniform_work_group_size: 1
    .uses_dynamic_stack: false
    .vgpr_count:     18
    .vgpr_spill_count: 0
    .wavefront_size: 32
    .workgroup_processor_mode: 1
  - .args:
      - .address_space:  global
        .offset:         0
        .size:           8
        .value_kind:     global_buffer
      - .address_space:  global
        .offset:         8
        .size:           8
        .value_kind:     global_buffer
      - .address_space:  global
        .offset:         16
        .size:           8
        .value_kind:     global_buffer
      - .offset:         24
        .size:           8
        .value_kind:     by_value
      - .offset:         32
        .size:           8
        .value_kind:     by_value
      - .offset:         40
        .size:           8
        .value_kind:     by_value
      - .offset:         48
        .size:           8
        .value_kind:     by_value
      - .offset:         56
        .size:           8
        .value_kind:     by_value
      - .offset:         64
        .size:           8
        .value_kind:     by_value
      - .offset:         72
        .size:           4
        .value_kind:     hidden_block_count_x
      - .offset:         76
        .size:           4
        .value_kind:     hidden_block_count_y
      - .offset:         80
        .size:           4
        .value_kind:     hidden_block_count_z
      - .offset:         84
        .size:           2
        .value_kind:     hidden_group_size_x
      - .offset:         86
        .size:           2
        .value_kind:     hidden_group_size_y
      - .offset:         88
        .size:           2
        .value_kind:     hidden_group_size_z
      - .offset:         90
        .size:           2
        .value_kind:     hidden_remainder_x
      - .offset:         92
        .size:           2
        .value_kind:     hidden_remainder_y
      - .offset:         94
        .size:           2
        .value_kind:     hidden_remainder_z
      - .offset:         112
        .size:           8
        .value_kind:     hidden_global_offset_x
      - .offset:         120
        .size:           8
        .value_kind:     hidden_global_offset_y
      - .offset:         128
        .size:           8
        .value_kind:     hidden_global_offset_z
      - .offset:         136
        .size:           2
        .value_kind:     hidden_grid_dims
    .group_segment_fixed_size: 0
    .kernarg_segment_align: 8
    .kernarg_segment_size: 328
    .language:       OpenCL C
    .language_version:
      - 2
      - 0
    .max_flat_workgroup_size: 256
    .name:           _ZL15concat_f32_contILi2EEvPKfS1_Pfllllll
    .private_segment_fixed_size: 0
    .sgpr_count:     24
    .sgpr_spill_count: 0
    .symbol:         _ZL15concat_f32_contILi2EEvPKfS1_Pfllllll.kd
    .uniform_work_group_size: 1
    .uses_dynamic_stack: false
    .vgpr_count:     11
    .vgpr_spill_count: 0
    .wavefront_size: 32
    .workgroup_processor_mode: 1
  - .args:
      - .address_space:  global
        .offset:         0
        .size:           8
        .value_kind:     global_buffer
      - .address_space:  global
        .offset:         8
        .size:           8
        .value_kind:     global_buffer
      - .address_space:  global
        .offset:         16
        .size:           8
        .value_kind:     global_buffer
      - .offset:         24
        .size:           8
        .value_kind:     by_value
      - .offset:         32
        .size:           8
        .value_kind:     by_value
      - .offset:         40
        .size:           8
        .value_kind:     by_value
      - .offset:         48
        .size:           8
        .value_kind:     by_value
      - .offset:         56
        .size:           8
        .value_kind:     by_value
      - .offset:         64
        .size:           8
        .value_kind:     by_value
      - .offset:         72
        .size:           8
        .value_kind:     by_value
      - .offset:         80
        .size:           8
        .value_kind:     by_value
      - .offset:         88
        .size:           8
        .value_kind:     by_value
      - .offset:         96
        .size:           8
        .value_kind:     by_value
      - .offset:         104
        .size:           8
        .value_kind:     by_value
      - .offset:         112
        .size:           8
        .value_kind:     by_value
      - .offset:         120
        .size:           8
        .value_kind:     by_value
      - .offset:         128
        .size:           8
        .value_kind:     by_value
      - .offset:         136
        .size:           8
        .value_kind:     by_value
      - .offset:         144
        .size:           8
        .value_kind:     by_value
      - .offset:         152
        .size:           8
        .value_kind:     by_value
      - .offset:         160
        .size:           8
        .value_kind:     by_value
      - .offset:         168
        .size:           8
        .value_kind:     by_value
      - .offset:         176
        .size:           8
        .value_kind:     by_value
      - .offset:         184
        .size:           8
        .value_kind:     by_value
      - .offset:         192
        .size:           8
        .value_kind:     by_value
      - .offset:         200
        .size:           8
        .value_kind:     by_value
      - .offset:         208
        .size:           8
        .value_kind:     by_value
      - .offset:         216
        .size:           4
        .value_kind:     hidden_block_count_x
      - .offset:         220
        .size:           4
        .value_kind:     hidden_block_count_y
      - .offset:         224
        .size:           4
        .value_kind:     hidden_block_count_z
      - .offset:         228
        .size:           2
        .value_kind:     hidden_group_size_x
      - .offset:         230
        .size:           2
        .value_kind:     hidden_group_size_y
      - .offset:         232
        .size:           2
        .value_kind:     hidden_group_size_z
      - .offset:         234
        .size:           2
        .value_kind:     hidden_remainder_x
      - .offset:         236
        .size:           2
        .value_kind:     hidden_remainder_y
      - .offset:         238
        .size:           2
        .value_kind:     hidden_remainder_z
      - .offset:         256
        .size:           8
        .value_kind:     hidden_global_offset_x
      - .offset:         264
        .size:           8
        .value_kind:     hidden_global_offset_y
      - .offset:         272
        .size:           8
        .value_kind:     hidden_global_offset_z
      - .offset:         280
        .size:           2
        .value_kind:     hidden_grid_dims
    .group_segment_fixed_size: 0
    .kernarg_segment_align: 8
    .kernarg_segment_size: 472
    .language:       OpenCL C
    .language_version:
      - 2
      - 0
    .max_flat_workgroup_size: 256
    .name:           _ZL19concat_f32_non_contILi0EEvPKcS1_Pcllllmmmmllllmmmmllllmmmm
    .private_segment_fixed_size: 0
    .sgpr_count:     53
    .sgpr_spill_count: 0
    .symbol:         _ZL19concat_f32_non_contILi0EEvPKcS1_Pcllllmmmmllllmmmmllllmmmm.kd
    .uniform_work_group_size: 1
    .uses_dynamic_stack: false
    .vgpr_count:     10
    .vgpr_spill_count: 0
    .wavefront_size: 32
    .workgroup_processor_mode: 1
  - .args:
      - .address_space:  global
        .offset:         0
        .size:           8
        .value_kind:     global_buffer
      - .address_space:  global
        .offset:         8
        .size:           8
        .value_kind:     global_buffer
      - .address_space:  global
        .offset:         16
        .size:           8
        .value_kind:     global_buffer
      - .offset:         24
        .size:           8
        .value_kind:     by_value
      - .offset:         32
        .size:           8
        .value_kind:     by_value
      - .offset:         40
        .size:           8
        .value_kind:     by_value
      - .offset:         48
        .size:           8
        .value_kind:     by_value
      - .offset:         56
        .size:           8
        .value_kind:     by_value
      - .offset:         64
        .size:           8
        .value_kind:     by_value
      - .offset:         72
        .size:           8
        .value_kind:     by_value
      - .offset:         80
        .size:           8
        .value_kind:     by_value
      - .offset:         88
        .size:           8
        .value_kind:     by_value
      - .offset:         96
        .size:           8
        .value_kind:     by_value
      - .offset:         104
        .size:           8
        .value_kind:     by_value
      - .offset:         112
        .size:           8
        .value_kind:     by_value
      - .offset:         120
        .size:           8
        .value_kind:     by_value
      - .offset:         128
        .size:           8
        .value_kind:     by_value
      - .offset:         136
        .size:           8
        .value_kind:     by_value
      - .offset:         144
        .size:           8
        .value_kind:     by_value
      - .offset:         152
        .size:           8
        .value_kind:     by_value
      - .offset:         160
        .size:           8
        .value_kind:     by_value
      - .offset:         168
        .size:           8
        .value_kind:     by_value
      - .offset:         176
        .size:           8
        .value_kind:     by_value
      - .offset:         184
        .size:           8
        .value_kind:     by_value
      - .offset:         192
        .size:           8
        .value_kind:     by_value
      - .offset:         200
        .size:           8
        .value_kind:     by_value
      - .offset:         208
        .size:           8
        .value_kind:     by_value
      - .offset:         216
        .size:           4
        .value_kind:     hidden_block_count_x
      - .offset:         220
        .size:           4
        .value_kind:     hidden_block_count_y
      - .offset:         224
        .size:           4
        .value_kind:     hidden_block_count_z
      - .offset:         228
        .size:           2
        .value_kind:     hidden_group_size_x
      - .offset:         230
        .size:           2
        .value_kind:     hidden_group_size_y
      - .offset:         232
        .size:           2
        .value_kind:     hidden_group_size_z
      - .offset:         234
        .size:           2
        .value_kind:     hidden_remainder_x
      - .offset:         236
        .size:           2
        .value_kind:     hidden_remainder_y
      - .offset:         238
        .size:           2
        .value_kind:     hidden_remainder_z
      - .offset:         256
        .size:           8
        .value_kind:     hidden_global_offset_x
      - .offset:         264
        .size:           8
        .value_kind:     hidden_global_offset_y
      - .offset:         272
        .size:           8
        .value_kind:     hidden_global_offset_z
      - .offset:         280
        .size:           2
        .value_kind:     hidden_grid_dims
    .group_segment_fixed_size: 0
    .kernarg_segment_align: 8
    .kernarg_segment_size: 472
    .language:       OpenCL C
    .language_version:
      - 2
      - 0
    .max_flat_workgroup_size: 256
    .name:           _ZL19concat_f32_non_contILi1EEvPKcS1_Pcllllmmmmllllmmmmllllmmmm
    .private_segment_fixed_size: 0
    .sgpr_count:     52
    .sgpr_spill_count: 0
    .symbol:         _ZL19concat_f32_non_contILi1EEvPKcS1_Pcllllmmmmllllmmmmllllmmmm.kd
    .uniform_work_group_size: 1
    .uses_dynamic_stack: false
    .vgpr_count:     14
    .vgpr_spill_count: 0
    .wavefront_size: 32
    .workgroup_processor_mode: 1
  - .args:
      - .address_space:  global
        .offset:         0
        .size:           8
        .value_kind:     global_buffer
      - .address_space:  global
        .offset:         8
        .size:           8
        .value_kind:     global_buffer
      - .address_space:  global
        .offset:         16
        .size:           8
        .value_kind:     global_buffer
      - .offset:         24
        .size:           8
        .value_kind:     by_value
      - .offset:         32
        .size:           8
        .value_kind:     by_value
      - .offset:         40
        .size:           8
        .value_kind:     by_value
      - .offset:         48
        .size:           8
        .value_kind:     by_value
      - .offset:         56
        .size:           8
        .value_kind:     by_value
      - .offset:         64
        .size:           8
        .value_kind:     by_value
      - .offset:         72
        .size:           8
        .value_kind:     by_value
      - .offset:         80
        .size:           8
        .value_kind:     by_value
      - .offset:         88
        .size:           8
        .value_kind:     by_value
      - .offset:         96
        .size:           8
        .value_kind:     by_value
      - .offset:         104
        .size:           8
        .value_kind:     by_value
      - .offset:         112
        .size:           8
        .value_kind:     by_value
      - .offset:         120
        .size:           8
        .value_kind:     by_value
      - .offset:         128
        .size:           8
        .value_kind:     by_value
      - .offset:         136
        .size:           8
        .value_kind:     by_value
      - .offset:         144
        .size:           8
        .value_kind:     by_value
      - .offset:         152
        .size:           8
        .value_kind:     by_value
      - .offset:         160
        .size:           8
        .value_kind:     by_value
      - .offset:         168
        .size:           8
        .value_kind:     by_value
      - .offset:         176
        .size:           8
        .value_kind:     by_value
      - .offset:         184
        .size:           8
        .value_kind:     by_value
      - .offset:         192
        .size:           8
        .value_kind:     by_value
      - .offset:         200
        .size:           8
        .value_kind:     by_value
      - .offset:         208
        .size:           8
        .value_kind:     by_value
      - .offset:         216
        .size:           4
        .value_kind:     hidden_block_count_x
      - .offset:         220
        .size:           4
        .value_kind:     hidden_block_count_y
      - .offset:         224
        .size:           4
        .value_kind:     hidden_block_count_z
      - .offset:         228
        .size:           2
        .value_kind:     hidden_group_size_x
      - .offset:         230
        .size:           2
        .value_kind:     hidden_group_size_y
      - .offset:         232
        .size:           2
        .value_kind:     hidden_group_size_z
      - .offset:         234
        .size:           2
        .value_kind:     hidden_remainder_x
      - .offset:         236
        .size:           2
        .value_kind:     hidden_remainder_y
      - .offset:         238
        .size:           2
        .value_kind:     hidden_remainder_z
      - .offset:         256
        .size:           8
        .value_kind:     hidden_global_offset_x
      - .offset:         264
        .size:           8
        .value_kind:     hidden_global_offset_y
      - .offset:         272
        .size:           8
        .value_kind:     hidden_global_offset_z
      - .offset:         280
        .size:           2
        .value_kind:     hidden_grid_dims
    .group_segment_fixed_size: 0
    .kernarg_segment_align: 8
    .kernarg_segment_size: 472
    .language:       OpenCL C
    .language_version:
      - 2
      - 0
    .max_flat_workgroup_size: 256
    .name:           _ZL19concat_f32_non_contILi2EEvPKcS1_Pcllllmmmmllllmmmmllllmmmm
    .private_segment_fixed_size: 0
    .sgpr_count:     52
    .sgpr_spill_count: 0
    .symbol:         _ZL19concat_f32_non_contILi2EEvPKcS1_Pcllllmmmmllllmmmmllllmmmm.kd
    .uniform_work_group_size: 1
    .uses_dynamic_stack: false
    .vgpr_count:     14
    .vgpr_spill_count: 0
    .wavefront_size: 32
    .workgroup_processor_mode: 1
  - .args:
      - .address_space:  global
        .offset:         0
        .size:           8
        .value_kind:     global_buffer
      - .address_space:  global
        .offset:         8
        .size:           8
        .value_kind:     global_buffer
      - .address_space:  global
        .offset:         16
        .size:           8
        .value_kind:     global_buffer
      - .offset:         24
        .size:           8
        .value_kind:     by_value
      - .offset:         32
        .size:           8
        .value_kind:     by_value
      - .offset:         40
        .size:           8
        .value_kind:     by_value
      - .offset:         48
        .size:           8
        .value_kind:     by_value
      - .offset:         56
        .size:           8
        .value_kind:     by_value
      - .offset:         64
        .size:           8
        .value_kind:     by_value
      - .offset:         72
        .size:           8
        .value_kind:     by_value
      - .offset:         80
        .size:           8
        .value_kind:     by_value
      - .offset:         88
        .size:           8
        .value_kind:     by_value
      - .offset:         96
        .size:           8
        .value_kind:     by_value
      - .offset:         104
        .size:           8
        .value_kind:     by_value
      - .offset:         112
        .size:           8
        .value_kind:     by_value
      - .offset:         120
        .size:           8
        .value_kind:     by_value
      - .offset:         128
        .size:           8
        .value_kind:     by_value
      - .offset:         136
        .size:           8
        .value_kind:     by_value
      - .offset:         144
        .size:           8
        .value_kind:     by_value
      - .offset:         152
        .size:           8
        .value_kind:     by_value
      - .offset:         160
        .size:           8
        .value_kind:     by_value
      - .offset:         168
        .size:           8
        .value_kind:     by_value
      - .offset:         176
        .size:           8
        .value_kind:     by_value
      - .offset:         184
        .size:           8
        .value_kind:     by_value
      - .offset:         192
        .size:           8
        .value_kind:     by_value
      - .offset:         200
        .size:           8
        .value_kind:     by_value
      - .offset:         208
        .size:           8
        .value_kind:     by_value
      - .offset:         216
        .size:           4
        .value_kind:     hidden_block_count_x
      - .offset:         220
        .size:           4
        .value_kind:     hidden_block_count_y
      - .offset:         224
        .size:           4
        .value_kind:     hidden_block_count_z
      - .offset:         228
        .size:           2
        .value_kind:     hidden_group_size_x
      - .offset:         230
        .size:           2
        .value_kind:     hidden_group_size_y
      - .offset:         232
        .size:           2
        .value_kind:     hidden_group_size_z
      - .offset:         234
        .size:           2
        .value_kind:     hidden_remainder_x
      - .offset:         236
        .size:           2
        .value_kind:     hidden_remainder_y
      - .offset:         238
        .size:           2
        .value_kind:     hidden_remainder_z
      - .offset:         256
        .size:           8
        .value_kind:     hidden_global_offset_x
      - .offset:         264
        .size:           8
        .value_kind:     hidden_global_offset_y
      - .offset:         272
        .size:           8
        .value_kind:     hidden_global_offset_z
      - .offset:         280
        .size:           2
        .value_kind:     hidden_grid_dims
    .group_segment_fixed_size: 0
    .kernarg_segment_align: 8
    .kernarg_segment_size: 472
    .language:       OpenCL C
    .language_version:
      - 2
      - 0
    .max_flat_workgroup_size: 256
    .name:           _ZL19concat_f32_non_contILi3EEvPKcS1_Pcllllmmmmllllmmmmllllmmmm
    .private_segment_fixed_size: 0
    .sgpr_count:     55
    .sgpr_spill_count: 0
    .symbol:         _ZL19concat_f32_non_contILi3EEvPKcS1_Pcllllmmmmllllmmmmllllmmmm.kd
    .uniform_work_group_size: 1
    .uses_dynamic_stack: false
    .vgpr_count:     14
    .vgpr_spill_count: 0
    .wavefront_size: 32
    .workgroup_processor_mode: 1
amdhsa.target:   amdgcn-amd-amdhsa--gfx1100
amdhsa.version:
  - 1
  - 2
...

	.end_amdgpu_metadata
